;; amdgpu-corpus repo=ROCm/rocFFT kind=compiled arch=gfx1030 opt=O3
	.text
	.amdgcn_target "amdgcn-amd-amdhsa--gfx1030"
	.amdhsa_code_object_version 6
	.protected	fft_rtc_fwd_len169_factors_13_13_wgs_156_tpt_13_half_op_CI_CI_sbcc_twdbase8_2step_dirReg_intrinsicRead ; -- Begin function fft_rtc_fwd_len169_factors_13_13_wgs_156_tpt_13_half_op_CI_CI_sbcc_twdbase8_2step_dirReg_intrinsicRead
	.globl	fft_rtc_fwd_len169_factors_13_13_wgs_156_tpt_13_half_op_CI_CI_sbcc_twdbase8_2step_dirReg_intrinsicRead
	.p2align	8
	.type	fft_rtc_fwd_len169_factors_13_13_wgs_156_tpt_13_half_op_CI_CI_sbcc_twdbase8_2step_dirReg_intrinsicRead,@function
fft_rtc_fwd_len169_factors_13_13_wgs_156_tpt_13_half_op_CI_CI_sbcc_twdbase8_2step_dirReg_intrinsicRead: ; @fft_rtc_fwd_len169_factors_13_13_wgs_156_tpt_13_half_op_CI_CI_sbcc_twdbase8_2step_dirReg_intrinsicRead
; %bb.0:
	s_clause 0x1
	s_load_dwordx4 s[20:23], s[4:5], 0x18
	s_load_dwordx2 s[28:29], s[4:5], 0x28
	s_mov_b64 s[26:27], 0
	s_waitcnt lgkmcnt(0)
	s_load_dwordx2 s[34:35], s[20:21], 0x8
	s_waitcnt lgkmcnt(0)
	s_add_u32 s0, s34, -1
	s_addc_u32 s1, s35, -1
	s_add_u32 s2, 0, 0x55540000
	s_addc_u32 s3, 0, 0x55
	s_mul_hi_u32 s8, s2, -12
	s_add_i32 s3, s3, 0x15555500
	s_sub_i32 s8, s8, s2
	s_mul_i32 s10, s3, -12
	s_mul_i32 s7, s2, -12
	s_add_i32 s8, s8, s10
	s_mul_hi_u32 s9, s2, s7
	s_mul_i32 s12, s2, s8
	s_mul_hi_u32 s10, s2, s8
	s_mul_hi_u32 s11, s3, s7
	s_mul_i32 s7, s3, s7
	s_add_u32 s9, s9, s12
	s_addc_u32 s10, 0, s10
	s_mul_hi_u32 s13, s3, s8
	s_add_u32 s7, s9, s7
	s_mul_i32 s8, s3, s8
	s_addc_u32 s7, s10, s11
	s_addc_u32 s9, s13, 0
	s_add_u32 s7, s7, s8
	v_add_co_u32 v1, s2, s2, s7
	s_addc_u32 s7, 0, s9
	s_cmp_lg_u32 s2, 0
	s_addc_u32 s2, s3, s7
	v_readfirstlane_b32 s3, v1
	s_mul_i32 s8, s0, s2
	s_mul_hi_u32 s7, s0, s2
	s_mul_hi_u32 s9, s1, s2
	s_mul_i32 s2, s1, s2
	s_mul_hi_u32 s10, s0, s3
	s_mul_hi_u32 s11, s1, s3
	s_mul_i32 s3, s1, s3
	s_add_u32 s8, s10, s8
	s_addc_u32 s7, 0, s7
	s_add_u32 s3, s8, s3
	s_addc_u32 s3, s7, s11
	s_addc_u32 s7, s9, 0
	s_add_u32 s2, s3, s2
	s_addc_u32 s3, 0, s7
	s_mul_i32 s8, s2, 12
	s_add_u32 s7, s2, 1
	v_sub_co_u32 v1, s0, s0, s8
	s_mul_hi_u32 s8, s2, 12
	s_addc_u32 s9, s3, 0
	s_mul_i32 s10, s3, 12
	v_sub_co_u32 v2, s11, v1, 12
	s_add_u32 s12, s2, 2
	s_addc_u32 s13, s3, 0
	s_add_i32 s8, s8, s10
	s_cmp_lg_u32 s0, 0
	v_readfirstlane_b32 s0, v2
	s_subb_u32 s1, s1, s8
	s_cmp_lg_u32 s11, 0
	s_subb_u32 s8, s1, 0
	s_cmp_gt_u32 s0, 11
	s_cselect_b32 s0, -1, 0
	s_cmp_eq_u32 s8, 0
	v_readfirstlane_b32 s8, v1
	s_cselect_b32 s0, s0, -1
	s_cmp_lg_u32 s0, 0
	s_cselect_b32 s0, s12, s7
	s_cselect_b32 s9, s13, s9
	s_cmp_gt_u32 s8, 11
	s_cselect_b32 s7, -1, 0
	s_cmp_eq_u32 s1, 0
	s_cselect_b32 s1, s7, -1
	s_mov_b32 s7, 0
	s_cmp_lg_u32 s1, 0
	s_cselect_b32 s0, s0, s2
	s_cselect_b32 s1, s9, s3
	s_add_u32 s36, s0, 1
	s_addc_u32 s37, s1, 0
	v_cmp_lt_u64_e64 s0, s[6:7], s[36:37]
	s_and_b32 vcc_lo, exec_lo, s0
	s_cbranch_vccnz .LBB0_2
; %bb.1:
	v_cvt_f32_u32_e32 v1, s36
	s_sub_i32 s1, 0, s36
	s_mov_b32 s27, s7
	v_rcp_iflag_f32_e32 v1, v1
	v_mul_f32_e32 v1, 0x4f7ffffe, v1
	v_cvt_u32_f32_e32 v1, v1
	v_readfirstlane_b32 s0, v1
	s_mul_i32 s1, s1, s0
	s_mul_hi_u32 s1, s0, s1
	s_add_i32 s0, s0, s1
	s_mul_hi_u32 s0, s6, s0
	s_mul_i32 s1, s0, s36
	s_add_i32 s2, s0, 1
	s_sub_i32 s1, s6, s1
	s_sub_i32 s3, s1, s36
	s_cmp_ge_u32 s1, s36
	s_cselect_b32 s0, s2, s0
	s_cselect_b32 s1, s3, s1
	s_add_i32 s2, s0, 1
	s_cmp_ge_u32 s1, s36
	s_cselect_b32 s26, s2, s0
.LBB0_2:
	s_load_dwordx4 s[16:19], s[22:23], 0x0
	s_load_dwordx4 s[0:3], s[28:29], 0x0
	s_clause 0x1
	s_load_dwordx4 s[12:15], s[4:5], 0x8
	s_load_dwordx2 s[30:31], s[4:5], 0x0
	s_mul_i32 s8, s26, s37
	s_mul_hi_u32 s9, s26, s36
	s_mul_i32 s10, s26, s36
	s_add_i32 s9, s9, s8
	s_sub_u32 s33, s6, s10
	s_subb_u32 s8, 0, s9
	s_waitcnt lgkmcnt(0)
	s_mul_hi_u32 s17, s33, 12
	s_mul_i32 s24, s8, 12
	s_load_dwordx4 s[8:11], s[4:5], 0x60
	s_add_i32 s17, s17, s24
	s_mul_i32 s33, s33, 12
	s_mul_i32 s4, s18, s17
	s_mul_hi_u32 s5, s18, s33
	v_cmp_lt_u64_e64 s39, s[14:15], 3
	s_mul_i32 s24, s2, s17
	s_mul_hi_u32 s25, s2, s33
	s_mul_i32 s19, s19, s33
	s_mul_i32 s38, s3, s33
	s_add_i32 s4, s5, s4
	s_add_i32 s5, s25, s24
	;; [unrolled: 1-line block ×3, first 2 shown]
	s_mul_i32 s19, s18, s33
	s_add_i32 s25, s5, s38
	s_and_b32 vcc_lo, exec_lo, s39
	s_mul_i32 s24, s2, s33
	s_cbranch_vccnz .LBB0_12
; %bb.3:
	s_add_u32 s4, s28, 16
	s_addc_u32 s5, s29, 0
	s_add_u32 s38, s22, 16
	s_addc_u32 s39, s23, 0
	;; [unrolled: 2-line block ×3, first 2 shown]
	s_mov_b64 s[40:41], 2
	s_mov_b32 s42, 0
.LBB0_4:                                ; =>This Inner Loop Header: Depth=1
	s_load_dwordx2 s[44:45], s[20:21], 0x0
	s_waitcnt lgkmcnt(0)
	s_or_b64 s[46:47], s[26:27], s[44:45]
	s_mov_b32 s43, s47
                                        ; implicit-def: $sgpr46_sgpr47
	s_cmp_lg_u64 s[42:43], 0
	s_mov_b32 s43, -1
	s_cbranch_scc0 .LBB0_6
; %bb.5:                                ;   in Loop: Header=BB0_4 Depth=1
	v_cvt_f32_u32_e32 v1, s44
	v_cvt_f32_u32_e32 v2, s45
	s_sub_u32 s47, 0, s44
	s_subb_u32 s49, 0, s45
	v_fmac_f32_e32 v1, 0x4f800000, v2
	v_rcp_f32_e32 v1, v1
	v_mul_f32_e32 v1, 0x5f7ffffc, v1
	v_mul_f32_e32 v2, 0x2f800000, v1
	v_trunc_f32_e32 v2, v2
	v_fmac_f32_e32 v1, 0xcf800000, v2
	v_cvt_u32_f32_e32 v2, v2
	v_cvt_u32_f32_e32 v1, v1
	v_readfirstlane_b32 s43, v2
	v_readfirstlane_b32 s46, v1
	s_mul_i32 s50, s47, s43
	s_mul_hi_u32 s52, s47, s46
	s_mul_i32 s51, s49, s46
	s_add_i32 s50, s52, s50
	s_mul_i32 s53, s47, s46
	s_add_i32 s50, s50, s51
	s_mul_hi_u32 s52, s46, s53
	s_mul_hi_u32 s54, s43, s53
	s_mul_i32 s51, s43, s53
	s_mul_hi_u32 s53, s46, s50
	s_mul_i32 s46, s46, s50
	s_mul_hi_u32 s55, s43, s50
	s_add_u32 s46, s52, s46
	s_addc_u32 s52, 0, s53
	s_add_u32 s46, s46, s51
	s_mul_i32 s50, s43, s50
	s_addc_u32 s46, s52, s54
	s_addc_u32 s51, s55, 0
	s_add_u32 s46, s46, s50
	s_addc_u32 s50, 0, s51
	v_add_co_u32 v1, s46, v1, s46
	s_cmp_lg_u32 s46, 0
	s_addc_u32 s43, s43, s50
	v_readfirstlane_b32 s46, v1
	s_mul_i32 s50, s47, s43
	s_mul_hi_u32 s51, s47, s46
	s_mul_i32 s49, s49, s46
	s_add_i32 s50, s51, s50
	s_mul_i32 s47, s47, s46
	s_add_i32 s50, s50, s49
	s_mul_hi_u32 s51, s43, s47
	s_mul_i32 s52, s43, s47
	s_mul_hi_u32 s47, s46, s47
	s_mul_hi_u32 s53, s46, s50
	s_mul_i32 s46, s46, s50
	s_mul_hi_u32 s49, s43, s50
	s_add_u32 s46, s47, s46
	s_addc_u32 s47, 0, s53
	s_add_u32 s46, s46, s52
	s_mul_i32 s50, s43, s50
	s_addc_u32 s46, s47, s51
	s_addc_u32 s47, s49, 0
	s_add_u32 s46, s46, s50
	s_addc_u32 s47, 0, s47
	v_add_co_u32 v1, s46, v1, s46
	s_cmp_lg_u32 s46, 0
	s_addc_u32 s43, s43, s47
	v_readfirstlane_b32 s46, v1
	s_mul_i32 s49, s26, s43
	s_mul_hi_u32 s47, s26, s43
	s_mul_hi_u32 s50, s27, s43
	s_mul_i32 s43, s27, s43
	s_mul_hi_u32 s51, s26, s46
	s_mul_hi_u32 s52, s27, s46
	s_mul_i32 s46, s27, s46
	s_add_u32 s49, s51, s49
	s_addc_u32 s47, 0, s47
	s_add_u32 s46, s49, s46
	s_addc_u32 s46, s47, s52
	s_addc_u32 s47, s50, 0
	s_add_u32 s46, s46, s43
	s_addc_u32 s47, 0, s47
	s_mul_hi_u32 s43, s44, s46
	s_mul_i32 s50, s44, s47
	s_mul_i32 s51, s44, s46
	s_add_i32 s43, s43, s50
	v_sub_co_u32 v1, s50, s26, s51
	s_mul_i32 s49, s45, s46
	s_add_i32 s43, s43, s49
	v_sub_co_u32 v2, s51, v1, s44
	s_sub_i32 s49, s27, s43
	s_cmp_lg_u32 s50, 0
	s_subb_u32 s49, s49, s45
	s_cmp_lg_u32 s51, 0
	v_readfirstlane_b32 s51, v2
	s_subb_u32 s49, s49, 0
	s_cmp_ge_u32 s49, s45
	s_cselect_b32 s52, -1, 0
	s_cmp_ge_u32 s51, s44
	s_cselect_b32 s51, -1, 0
	s_cmp_eq_u32 s49, s45
	s_cselect_b32 s49, s51, s52
	s_add_u32 s51, s46, 1
	s_addc_u32 s52, s47, 0
	s_add_u32 s53, s46, 2
	s_addc_u32 s54, s47, 0
	s_cmp_lg_u32 s49, 0
	s_cselect_b32 s49, s53, s51
	s_cselect_b32 s51, s54, s52
	s_cmp_lg_u32 s50, 0
	v_readfirstlane_b32 s50, v1
	s_subb_u32 s43, s27, s43
	s_cmp_ge_u32 s43, s45
	s_cselect_b32 s52, -1, 0
	s_cmp_ge_u32 s50, s44
	s_cselect_b32 s50, -1, 0
	s_cmp_eq_u32 s43, s45
	s_cselect_b32 s43, s50, s52
	s_cmp_lg_u32 s43, 0
	s_mov_b32 s43, 0
	s_cselect_b32 s47, s51, s47
	s_cselect_b32 s46, s49, s46
.LBB0_6:                                ;   in Loop: Header=BB0_4 Depth=1
	s_andn2_b32 vcc_lo, exec_lo, s43
	s_cbranch_vccnz .LBB0_8
; %bb.7:                                ;   in Loop: Header=BB0_4 Depth=1
	v_cvt_f32_u32_e32 v1, s44
	s_sub_i32 s46, 0, s44
	v_rcp_iflag_f32_e32 v1, v1
	v_mul_f32_e32 v1, 0x4f7ffffe, v1
	v_cvt_u32_f32_e32 v1, v1
	v_readfirstlane_b32 s43, v1
	s_mul_i32 s46, s46, s43
	s_mul_hi_u32 s46, s43, s46
	s_add_i32 s43, s43, s46
	s_mul_hi_u32 s43, s26, s43
	s_mul_i32 s46, s43, s44
	s_add_i32 s47, s43, 1
	s_sub_i32 s46, s26, s46
	s_sub_i32 s49, s46, s44
	s_cmp_ge_u32 s46, s44
	s_cselect_b32 s43, s47, s43
	s_cselect_b32 s46, s49, s46
	s_add_i32 s47, s43, 1
	s_cmp_ge_u32 s46, s44
	s_cselect_b32 s46, s47, s43
	s_mov_b32 s47, s42
.LBB0_8:                                ;   in Loop: Header=BB0_4 Depth=1
	s_load_dwordx2 s[50:51], s[38:39], 0x0
	s_load_dwordx2 s[52:53], s[4:5], 0x0
	s_mul_i32 s37, s44, s37
	s_mul_hi_u32 s43, s44, s36
	s_mul_i32 s49, s45, s36
	s_mul_i32 s45, s46, s45
	s_mul_hi_u32 s54, s46, s44
	s_mul_i32 s55, s47, s44
	s_add_i32 s37, s43, s37
	s_add_i32 s43, s54, s45
	s_mul_i32 s56, s46, s44
	s_add_i32 s37, s37, s49
	s_add_i32 s43, s43, s55
	s_sub_u32 s26, s26, s56
	s_subb_u32 s27, s27, s43
	s_mul_i32 s36, s44, s36
	s_waitcnt lgkmcnt(0)
	s_mul_i32 s43, s50, s27
	s_mul_hi_u32 s45, s50, s26
	s_mul_i32 s49, s51, s26
	s_add_i32 s43, s45, s43
	s_mul_i32 s50, s50, s26
	s_mul_i32 s27, s52, s27
	s_mul_hi_u32 s45, s52, s26
	s_add_i32 s43, s43, s49
	s_add_u32 s19, s50, s19
	s_addc_u32 s48, s43, s48
	s_add_i32 s27, s45, s27
	s_mul_i32 s43, s53, s26
	s_mul_i32 s26, s52, s26
	s_add_i32 s27, s27, s43
	s_add_u32 s24, s26, s24
	s_addc_u32 s25, s27, s25
	s_add_u32 s40, s40, 1
	s_addc_u32 s41, s41, 0
	s_add_u32 s4, s4, 8
	v_cmp_ge_u64_e64 s26, s[40:41], s[14:15]
	s_addc_u32 s5, s5, 0
	s_add_u32 s38, s38, 8
	s_addc_u32 s39, s39, 0
	s_add_u32 s20, s20, 8
	s_addc_u32 s21, s21, 0
	s_and_b32 vcc_lo, exec_lo, s26
	s_cbranch_vccnz .LBB0_10
; %bb.9:                                ;   in Loop: Header=BB0_4 Depth=1
	s_mov_b64 s[26:27], s[46:47]
	s_branch .LBB0_4
.LBB0_10:
	v_cmp_lt_u64_e64 s4, s[6:7], s[36:37]
	s_mov_b64 s[26:27], 0
	s_and_b32 vcc_lo, exec_lo, s4
	s_cbranch_vccnz .LBB0_12
; %bb.11:
	v_cvt_f32_u32_e32 v1, s36
	s_sub_i32 s5, 0, s36
	v_rcp_iflag_f32_e32 v1, v1
	v_mul_f32_e32 v1, 0x4f7ffffe, v1
	v_cvt_u32_f32_e32 v1, v1
	v_readfirstlane_b32 s4, v1
	s_mul_i32 s5, s5, s4
	s_mul_hi_u32 s5, s4, s5
	s_add_i32 s4, s4, s5
	s_mul_hi_u32 s4, s6, s4
	s_mul_i32 s5, s4, s36
	s_sub_i32 s5, s6, s5
	s_add_i32 s6, s4, 1
	s_sub_i32 s7, s5, s36
	s_cmp_ge_u32 s5, s36
	s_cselect_b32 s4, s6, s4
	s_cselect_b32 s5, s7, s5
	s_add_i32 s6, s4, 1
	s_cmp_ge_u32 s5, s36
	s_cselect_b32 s26, s6, s4
.LBB0_12:
	v_mul_u32_u24_e32 v1, 0x1556, v0
	s_lshl_b64 s[14:15], s[14:15], 3
	s_mov_b32 s7, 0x31014000
	s_add_u32 s4, s22, s14
	s_addc_u32 s5, s23, s15
	v_lshrrev_b32_e32 v15, 16, v1
	s_load_dword s20, s[4:5], 0x0
	s_waitcnt lgkmcnt(0)
	s_mov_b32 s5, s9
	s_mov_b32 s4, s8
	s_mov_b32 s6, -2
	v_mul_lo_u16 v1, v15, 12
	v_add_nc_u32_e32 v3, 13, v15
	v_add_nc_u32_e32 v4, 0x8f, v15
	;; [unrolled: 1-line block ×4, first 2 shown]
	v_sub_nc_u16 v1, v0, v1
	v_mul_lo_u32 v2, s16, v15
	v_add_nc_u32_e32 v9, 0x41, v15
	v_add_nc_u32_e32 v10, 0x68, v15
	v_mul_lo_u32 v6, s16, v6
	v_and_b32_e32 v16, 0xffff, v1
	v_mul_lo_u32 v1, s16, v3
	v_mul_lo_u32 v3, s16, v4
	;; [unrolled: 1-line block ×3, first 2 shown]
	v_add_nc_u32_e32 v11, 0x82, v15
	v_add_co_u32 v13, s9, s33, v16
	s_mul_i32 s8, s20, s26
	v_mul_lo_u32 v5, s18, v16
	v_add_co_ci_u32_e64 v14, null, s17, 0, s9
	s_add_i32 s18, s8, s19
	s_add_u32 s8, s33, 12
	s_addc_u32 s9, s17, 0
	v_cmp_gt_u64_e32 vcc_lo, s[34:35], v[13:14]
	v_cmp_le_u64_e64 s9, s[8:9], s[34:35]
	v_add_lshl_u32 v3, v5, v3, 2
	v_add_lshl_u32 v1, v5, v1, 2
	;; [unrolled: 1-line block ×3, first 2 shown]
	v_add_nc_u32_e32 v12, 0x75, v15
	v_add_nc_u32_e32 v14, 0x4e, v15
	s_or_b32 vcc_lo, s9, vcc_lo
	v_add_nc_u32_e32 v17, 0x5b, v15
	v_cndmask_b32_e32 v8, -1, v3, vcc_lo
	v_add_nc_u32_e32 v3, 39, v15
	v_cndmask_b32_e32 v7, -1, v1, vcc_lo
	v_cndmask_b32_e32 v1, -1, v4, vcc_lo
	v_add_nc_u32_e32 v4, 52, v15
	v_add_lshl_u32 v2, v5, v2, 2
	v_mul_lo_u32 v3, s16, v3
	v_add_lshl_u32 v6, v5, v6, 2
	v_mul_lo_u32 v9, s16, v9
	v_mul_lo_u32 v4, s16, v4
	;; [unrolled: 1-line block ×7, first 2 shown]
	v_add_lshl_u32 v3, v5, v3, 2
	v_cndmask_b32_e32 v2, -1, v2, vcc_lo
	v_add_lshl_u32 v4, v5, v4, 2
	v_cndmask_b32_e32 v6, -1, v6, vcc_lo
	s_lshl_b32 s8, s18, 2
	v_cndmask_b32_e32 v18, -1, v3, vcc_lo
	buffer_load_dword v1, v1, s[4:7], s8 offen
	v_cndmask_b32_e32 v4, -1, v4, vcc_lo
	v_add_lshl_u32 v9, v5, v9, 2
	v_add_lshl_u32 v11, v5, v11, 2
	;; [unrolled: 1-line block ×6, first 2 shown]
	s_clause 0x5
	buffer_load_dword v3, v2, s[4:7], s8 offen
	buffer_load_dword v7, v7, s[4:7], s8 offen
	;; [unrolled: 1-line block ×6, first 2 shown]
	v_cndmask_b32_e32 v11, -1, v11, vcc_lo
	v_cndmask_b32_e32 v12, -1, v12, vcc_lo
	;; [unrolled: 1-line block ×6, first 2 shown]
	s_clause 0x5
	buffer_load_dword v11, v11, s[4:7], s8 offen
	buffer_load_dword v12, v12, s[4:7], s8 offen
	;; [unrolled: 1-line block ×6, first 2 shown]
	v_mov_b32_e32 v18, 0xb770
	v_mov_b32_e32 v19, 0xba95
	;; [unrolled: 1-line block ×11, first 2 shown]
	v_mad_u32_u24 v14, 0x270, v15, 0
	v_lshl_add_u32 v29, v16, 2, v14
	s_waitcnt vmcnt(10)
	v_pk_add_f16 v30, v3, v7
	v_pk_add_f16 v31, v7, v1 neg_lo:[0,1] neg_hi:[0,1]
	v_pk_add_f16 v7, v7, v1
	s_waitcnt vmcnt(6)
	v_pk_add_f16 v32, v6, v2
	v_pk_add_f16 v33, v6, v2 neg_lo:[0,1] neg_hi:[0,1]
	v_pk_add_f16 v6, v30, v6
	v_mul_f16_sdwa v18, v31, v18 dst_sel:DWORD dst_unused:UNUSED_PAD src0_sel:WORD_1 src1_sel:DWORD
	s_waitcnt vmcnt(4)
	v_pk_add_f16 v36, v4, v12
	v_pk_add_f16 v37, v4, v12 neg_lo:[0,1] neg_hi:[0,1]
	v_lshrrev_b32_e32 v30, 16, v7
	v_pk_add_f16 v6, v6, v17
	v_mul_f16_e32 v42, 0xb770, v31
	v_mul_f16_sdwa v43, v31, v19 dst_sel:DWORD dst_unused:UNUSED_PAD src0_sel:WORD_1 src1_sel:DWORD
	v_mul_f16_e32 v44, 0xba95, v31
	v_mul_f16_sdwa v45, v31, v20 dst_sel:DWORD dst_unused:UNUSED_PAD src0_sel:WORD_1 src1_sel:DWORD
	v_pk_add_f16 v4, v6, v4
	v_mul_f16_e32 v46, 0xbbf1, v31
	v_mul_f16_sdwa v47, v31, v21 dst_sel:DWORD dst_unused:UNUSED_PAD src0_sel:WORD_1 src1_sel:DWORD
	v_mul_f16_e32 v48, 0xbb7b, v31
	v_mul_f16_sdwa v49, v31, v22 dst_sel:DWORD dst_unused:UNUSED_PAD src0_sel:WORD_1 src1_sel:DWORD
	v_mul_f16_e32 v50, 0xb94e, v31
	v_pk_mul_f16 v31, 0xb3a8, v31 op_sel_hi:[0,1]
	s_waitcnt vmcnt(2)
	v_pk_add_f16 v4, v4, v9
	v_pk_add_f16 v34, v17, v11
	v_pk_add_f16 v35, v17, v11 neg_lo:[0,1] neg_hi:[0,1]
	v_mul_f16_sdwa v51, v33, v19 dst_sel:DWORD dst_unused:UNUSED_PAD src0_sel:WORD_1 src1_sel:DWORD
	v_lshrrev_b32_e32 v52, 16, v32
	v_mul_f16_e32 v53, 0xba95, v33
	v_mul_f16_e32 v54, 0xbb7b, v33
	;; [unrolled: 1-line block ×5, first 2 shown]
	v_mul_f16_sdwa v58, v33, v21 dst_sel:DWORD dst_unused:UNUSED_PAD src0_sel:WORD_1 src1_sel:DWORD
	v_mul_f16_sdwa v59, v33, v23 dst_sel:DWORD dst_unused:UNUSED_PAD src0_sel:WORD_1 src1_sel:DWORD
	v_mul_f16_sdwa v60, v33, v24 dst_sel:DWORD dst_unused:UNUSED_PAD src0_sel:WORD_1 src1_sel:DWORD
	v_mul_f16_sdwa v61, v33, v25 dst_sel:DWORD dst_unused:UNUSED_PAD src0_sel:WORD_1 src1_sel:DWORD
	v_pk_mul_f16 v33, 0x3770, v33 op_sel_hi:[0,1]
	v_fma_f16 v91, v7, 0x3b15, -v18
	v_fmamk_f16 v92, v30, 0x3b15, v42
	v_fmac_f16_e32 v18, 0x3b15, v7
	v_fma_f16 v42, v30, 0x3b15, -v42
	v_fma_f16 v93, v7, 0x388b, -v43
	v_fmamk_f16 v94, v30, 0x388b, v44
	v_fmac_f16_e32 v43, 0x388b, v7
	v_fma_f16 v44, v30, 0x388b, -v44
	;; [unrolled: 4-line block ×5, first 2 shown]
	v_pk_fma_f16 v50, 0xbbc4, v7, v31 op_sel:[0,0,1] op_sel_hi:[0,1,0] neg_lo:[0,0,1] neg_hi:[0,0,1]
	v_pk_fma_f16 v7, 0xbbc4, v7, v31 op_sel:[0,0,1] op_sel_hi:[0,1,0]
	s_waitcnt vmcnt(1)
	v_pk_add_f16 v4, v4, v8
	v_lshrrev_b32_e32 v62, 16, v34
	v_mul_f16_e32 v63, 0xbbf1, v35
	v_mul_f16_e32 v64, 0xb3a8, v35
	v_mul_f16_e32 v65, 0x3b7b, v35
	v_mul_f16_e32 v66, 0x3770, v35
	v_mul_f16_e32 v67, 0xba95, v35
	v_mul_f16_sdwa v26, v35, v26 dst_sel:DWORD dst_unused:UNUSED_PAD src0_sel:WORD_1 src1_sel:DWORD
	v_mul_f16_sdwa v68, v35, v20 dst_sel:DWORD dst_unused:UNUSED_PAD src0_sel:WORD_1 src1_sel:DWORD
	;; [unrolled: 1-line block ×5, first 2 shown]
	v_pk_mul_f16 v35, 0xb94e, v35 op_sel_hi:[0,1]
	v_fmamk_f16 v31, v52, 0x388b, v53
	v_fma_f16 v53, v52, 0x388b, -v53
	v_fmamk_f16 v101, v52, 0xb5ac, v54
	v_fma_f16 v54, v52, 0xb5ac, -v54
	;; [unrolled: 2-line block ×5, first 2 shown]
	v_fma_f16 v57, v32, 0x388b, -v51
	v_fmac_f16_e32 v51, 0x388b, v32
	v_fma_f16 v105, v32, 0xb5ac, -v58
	v_fmac_f16_e32 v58, 0xb5ac, v32
	;; [unrolled: 2-line block ×5, first 2 shown]
	v_pk_fma_f16 v109, 0x3b15, v32, v33 op_sel:[0,0,1] op_sel_hi:[0,1,0] neg_lo:[0,0,1] neg_hi:[0,0,1]
	v_pk_fma_f16 v32, 0x3b15, v32, v33 op_sel:[0,0,1] op_sel_hi:[0,1,0]
	v_add_f16_e32 v6, v91, v3
	v_add_f16_sdwa v91, v92, v3 dst_sel:DWORD dst_unused:UNUSED_PAD src0_sel:DWORD src1_sel:WORD_1
	v_add_f16_e32 v92, v93, v3
	v_add_f16_sdwa v93, v94, v3 dst_sel:DWORD dst_unused:UNUSED_PAD src0_sel:DWORD src1_sel:WORD_1
	;; [unrolled: 2-line block ×5, first 2 shown]
	v_bfi_b32 v100, 0xffff, v7, v50
	s_waitcnt vmcnt(0)
	v_pk_add_f16 v4, v4, v5
	v_pk_add_f16 v38, v9, v10
	v_pk_add_f16 v39, v9, v10 neg_lo:[0,1] neg_hi:[0,1]
	v_lshrrev_b32_e32 v72, 16, v36
	v_mul_f16_e32 v73, 0xbb7b, v37
	v_mul_f16_e32 v74, 0x394e, v37
	;; [unrolled: 1-line block ×5, first 2 shown]
	v_mul_f16_sdwa v24, v37, v24 dst_sel:DWORD dst_unused:UNUSED_PAD src0_sel:WORD_1 src1_sel:DWORD
	v_mul_f16_sdwa v20, v37, v20 dst_sel:DWORD dst_unused:UNUSED_PAD src0_sel:WORD_1 src1_sel:DWORD
	;; [unrolled: 1-line block ×5, first 2 shown]
	v_pk_mul_f16 v37, 0x3a95, v37 op_sel_hi:[0,1]
	v_fmamk_f16 v17, v62, 0x2fb7, v63
	v_fma_f16 v33, v62, 0x2fb7, -v63
	v_fmamk_f16 v63, v62, 0xbbc4, v64
	v_fma_f16 v64, v62, 0xbbc4, -v64
	v_fmamk_f16 v110, v62, 0xb5ac, v65
	v_fma_f16 v65, v62, 0xb5ac, -v65
	v_fmamk_f16 v111, v62, 0x3b15, v66
	v_fma_f16 v66, v62, 0x3b15, -v66
	v_fmamk_f16 v112, v62, 0x388b, v67
	v_fma_f16 v62, v62, 0x388b, -v67
	v_fma_f16 v67, v34, 0x2fb7, -v68
	v_fmac_f16_e32 v68, 0x2fb7, v34
	v_fma_f16 v113, v34, 0xbbc4, -v69
	v_fmac_f16_e32 v69, 0xbbc4, v34
	;; [unrolled: 2-line block ×5, first 2 shown]
	v_pk_fma_f16 v117, 0xb9fd, v34, v35 op_sel:[0,0,1] op_sel_hi:[0,1,0] neg_lo:[0,0,1] neg_hi:[0,0,1]
	v_pk_fma_f16 v34, 0xb9fd, v34, v35 op_sel:[0,0,1] op_sel_hi:[0,1,0]
	v_add_f16_e32 v18, v18, v3
	v_add_f16_sdwa v42, v42, v3 dst_sel:DWORD dst_unused:UNUSED_PAD src0_sel:DWORD src1_sel:WORD_1
	v_add_f16_e32 v43, v43, v3
	v_add_f16_sdwa v44, v44, v3 dst_sel:DWORD dst_unused:UNUSED_PAD src0_sel:DWORD src1_sel:WORD_1
	v_add_f16_e32 v45, v45, v3
	v_add_f16_sdwa v46, v46, v3 dst_sel:DWORD dst_unused:UNUSED_PAD src0_sel:DWORD src1_sel:WORD_1
	v_add_f16_e32 v47, v47, v3
	v_add_f16_sdwa v48, v48, v3 dst_sel:DWORD dst_unused:UNUSED_PAD src0_sel:DWORD src1_sel:WORD_1
	v_add_f16_e32 v49, v49, v3
	v_add_f16_sdwa v30, v30, v3 dst_sel:DWORD dst_unused:UNUSED_PAD src0_sel:DWORD src1_sel:WORD_1
	v_pk_add_f16 v50, v50, v3
	v_pk_add_f16 v7, v7, v3
	v_bfi_b32 v136, 0xffff, v32, v109
	v_pk_add_f16 v3, v100, v3
	v_add_f16_e32 v6, v57, v6
	v_pk_add_f16 v4, v4, v10
	v_pk_add_f16 v40, v8, v5 neg_lo:[0,1] neg_hi:[0,1]
	v_lshrrev_b32_e32 v81, 16, v38
	v_mul_f16_e32 v82, 0xb94e, v39
	v_mul_f16_e32 v83, 0x3bf1, v39
	;; [unrolled: 1-line block ×5, first 2 shown]
	v_mul_f16_sdwa v25, v39, v25 dst_sel:DWORD dst_unused:UNUSED_PAD src0_sel:WORD_1 src1_sel:DWORD
	v_mul_f16_sdwa v19, v39, v19 dst_sel:DWORD dst_unused:UNUSED_PAD src0_sel:WORD_1 src1_sel:DWORD
	;; [unrolled: 1-line block ×5, first 2 shown]
	v_pk_mul_f16 v39, 0xbb7b, v39 op_sel_hi:[0,1]
	v_fmamk_f16 v35, v72, 0xb5ac, v73
	v_fma_f16 v73, v72, 0xb5ac, -v73
	v_fmamk_f16 v118, v72, 0xb9fd, v74
	v_fma_f16 v74, v72, 0xb9fd, -v74
	;; [unrolled: 2-line block ×5, first 2 shown]
	v_fma_f16 v77, v36, 0xb5ac, -v78
	v_fmac_f16_e32 v78, 0xb5ac, v36
	v_fma_f16 v122, v36, 0xb9fd, -v24
	v_fmac_f16_e32 v24, 0xb9fd, v36
	;; [unrolled: 2-line block ×5, first 2 shown]
	v_pk_fma_f16 v126, 0x388b, v36, v37 op_sel:[0,0,1] op_sel_hi:[0,1,0] neg_lo:[0,0,1] neg_hi:[0,0,1]
	v_pk_fma_f16 v36, 0x388b, v36, v37 op_sel:[0,0,1] op_sel_hi:[0,1,0]
	v_bfi_b32 v137, 0xffff, v34, v117
	v_add_f16_e32 v31, v31, v91
	v_pk_add_f16 v3, v136, v3
	v_add_f16_e32 v6, v67, v6
	v_pk_add_f16 v4, v4, v12
	v_pk_add_f16 v41, v8, v5
	v_mul_f16_sdwa v23, v40, v23 dst_sel:DWORD dst_unused:UNUSED_PAD src0_sel:WORD_1 src1_sel:DWORD
	v_fmamk_f16 v37, v81, 0xb9fd, v82
	v_fma_f16 v82, v81, 0xb9fd, -v82
	v_fmamk_f16 v127, v81, 0x2fb7, v83
	v_fma_f16 v83, v81, 0x2fb7, -v83
	;; [unrolled: 2-line block ×5, first 2 shown]
	v_fma_f16 v86, v38, 0xb9fd, -v87
	v_fmac_f16_e32 v87, 0xb9fd, v38
	v_fma_f16 v131, v38, 0x2fb7, -v25
	v_fmac_f16_e32 v25, 0x2fb7, v38
	;; [unrolled: 2-line block ×5, first 2 shown]
	v_pk_fma_f16 v135, 0xb5ac, v38, v39 op_sel:[0,0,1] op_sel_hi:[0,1,0] neg_lo:[0,0,1] neg_hi:[0,0,1]
	v_pk_fma_f16 v38, 0xb5ac, v38, v39 op_sel:[0,0,1] op_sel_hi:[0,1,0]
	v_bfi_b32 v138, 0xffff, v36, v126
	v_add_f16_e32 v18, v51, v18
	v_add_f16_e32 v42, v53, v42
	;; [unrolled: 1-line block ×5, first 2 shown]
	v_pk_add_f16 v3, v137, v3
	v_add_f16_e32 v5, v77, v6
	v_pk_add_f16 v4, v4, v11
	v_lshrrev_b32_e32 v89, 16, v41
	v_mul_f16_e32 v90, 0xb3a8, v40
	v_fma_f16 v39, v41, 0xbbc4, -v23
	v_bfi_b32 v9, 0xffff, v38, v135
	v_add_f16_e32 v43, v58, v43
	v_add_f16_e32 v44, v54, v44
	v_pk_add_f16 v7, v32, v7
	v_add_f16_e32 v18, v68, v18
	v_add_f16_e32 v31, v33, v42
	;; [unrolled: 1-line block ×5, first 2 shown]
	v_pk_add_f16 v3, v138, v3
	v_add_f16_e32 v5, v86, v5
	v_pk_add_f16 v2, v4, v2
	v_add_f16_e32 v54, v106, v94
	v_add_f16_e32 v42, v69, v43
	;; [unrolled: 1-line block ×8, first 2 shown]
	v_pk_add_f16 v3, v9, v3
	v_pk_add_f16 v1, v2, v1
	v_add_f16_e32 v2, v39, v5
	v_fmamk_f16 v5, v89, 0xbbc4, v90
	v_mul_f16_sdwa v9, v40, v27 dst_sel:DWORD dst_unused:UNUSED_PAD src0_sel:WORD_1 src1_sel:DWORD
	v_mul_f16_e32 v27, 0x3770, v40
	v_add_f16_e32 v45, v59, v45
	v_add_f16_e32 v46, v55, v46
	;; [unrolled: 1-line block ×3, first 2 shown]
	v_pk_add_f16 v7, v34, v7
	v_add_f16_e32 v47, v60, v47
	v_add_f16_e32 v24, v24, v42
	;; [unrolled: 1-line block ×7, first 2 shown]
	v_fmac_f16_e32 v23, 0xbbc4, v41
	v_add_f16_e32 v5, v5, v6
	v_fma_f16 v6, v41, 0x3b15, -v9
	v_fmamk_f16 v37, v89, 0x3b15, v27
	v_add_f16_e32 v57, v102, v95
	v_add_f16_e32 v48, v56, v48
	;; [unrolled: 1-line block ×5, first 2 shown]
	v_pk_add_f16 v7, v36, v7
	v_fma_f16 v36, v89, 0xbbc4, -v90
	v_mul_f16_sdwa v22, v40, v22 dst_sel:DWORD dst_unused:UNUSED_PAD src0_sel:WORD_1 src1_sel:DWORD
	v_add_f16_e32 v58, v103, v97
	v_add_f16_e32 v47, v70, v47
	;; [unrolled: 1-line block ×7, first 2 shown]
	v_fma_f16 v23, v89, 0x3b15, -v27
	v_mov_b32_e32 v31, 0x3a95
	v_add_f16_e32 v55, v107, v96
	v_add_f16_e32 v56, v108, v98
	;; [unrolled: 1-line block ×9, first 2 shown]
	v_fmac_f16_e32 v9, 0x3b15, v41
	v_fma_f16 v27, v41, 0xb9fd, -v22
	v_mul_f16_e32 v36, 0xb94e, v40
	v_add_f16_e32 v49, v61, v49
	v_add_f16_e32 v30, v52, v30
	v_pk_add_f16 v50, v109, v50
	v_add_f16_e32 v52, v111, v58
	v_add_f16_e32 v20, v20, v47
	;; [unrolled: 1-line block ×3, first 2 shown]
	v_mul_f16_sdwa v25, v40, v31 dst_sel:DWORD dst_unused:UNUSED_PAD src0_sel:WORD_1 src1_sel:DWORD
	v_add_f16_e32 v46, v115, v55
	v_add_f16_e32 v53, v116, v56
	;; [unrolled: 1-line block ×9, first 2 shown]
	v_fmac_f16_e32 v22, 0xb9fd, v41
	v_mul_f16_e32 v31, 0x3a95, v40
	v_fma_f16 v32, v89, 0xb9fd, -v36
	v_add_f16_e32 v8, v71, v49
	v_add_f16_e32 v30, v62, v30
	v_pk_add_f16 v49, v117, v50
	v_add_f16_e32 v44, v120, v52
	v_add_f16_e32 v20, v28, v20
	v_fmamk_f16 v27, v89, 0xb9fd, v36
	v_fma_f16 v36, v41, 0x388b, -v25
	v_fmac_f16_e32 v25, 0x388b, v41
	v_add_f16_e32 v43, v124, v46
	v_add_f16_e32 v46, v125, v53
	;; [unrolled: 1-line block ×6, first 2 shown]
	v_fmamk_f16 v22, v89, 0x388b, v31
	v_add_f16_e32 v12, v32, v12
	v_fma_f16 v31, v89, 0x388b, -v31
	v_mul_f16_sdwa v21, v40, v21 dst_sel:DWORD dst_unused:UNUSED_PAD src0_sel:WORD_1 src1_sel:DWORD
	v_mul_f16_e32 v32, 0xbb7b, v40
	v_add_f16_e32 v8, v80, v8
	v_add_f16_e32 v30, v72, v30
	v_pk_add_f16 v48, v126, v49
	v_add_f16_e32 v34, v129, v44
	v_add_f16_e32 v20, v25, v20
	v_pk_mul_f16 v25, 0x3bf1, v40 op_sel_hi:[0,1]
	v_add_f16_e32 v26, v133, v43
	v_add_f16_e32 v28, v134, v46
	v_add_f16_e32 v35, v130, v47
	v_add_f16_e32 v27, v27, v33
	v_add_f16_e32 v11, v31, v11
	v_fma_f16 v31, v41, 0xb5ac, -v21
	v_fmamk_f16 v33, v89, 0xb5ac, v32
	v_add_f16_e32 v8, v88, v8
	v_add_f16_e32 v4, v81, v30
	v_pk_add_f16 v30, v135, v48
	v_pk_add_f16 v7, v38, v7
	v_add_f16_e32 v22, v22, v34
	v_fmac_f16_e32 v21, 0xb5ac, v41
	v_pk_fma_f16 v34, 0x2fb7, v41, v25 op_sel:[0,0,1] op_sel_hi:[0,1,0] neg_lo:[0,0,1] neg_hi:[0,0,1]
	v_pk_fma_f16 v25, 0x2fb7, v41, v25 op_sel:[0,0,1] op_sel_hi:[0,1,0]
	v_fma_f16 v32, v89, 0xb5ac, -v32
	v_add_f16_e32 v26, v36, v26
	v_add_f16_e32 v28, v31, v28
	v_add_f16_e32 v31, v33, v35
	v_pack_b32_f16 v2, v2, v5
	v_add_f16_e32 v8, v21, v8
	v_bfi_b32 v21, 0xffff, v25, v34
	v_pack_b32_f16 v5, v6, v18
	v_pack_b32_f16 v6, v24, v27
	v_pk_add_f16 v18, v34, v30
	v_pk_add_f16 v7, v25, v7
	v_add_f16_e32 v4, v32, v4
	ds_write2_b32 v29, v1, v2 offset1:12
	ds_write2_b32 v29, v5, v6 offset0:24 offset1:36
	v_pack_b32_f16 v1, v26, v22
	v_pack_b32_f16 v2, v28, v31
	v_pk_add_f16 v3, v21, v3
	v_bfi_b32 v5, 0xffff, v18, v7
	v_pack_b32_f16 v4, v8, v4
	v_pack_b32_f16 v6, v20, v11
	;; [unrolled: 1-line block ×5, first 2 shown]
	ds_write2_b32 v29, v1, v2 offset0:48 offset1:60
	ds_write2_b32 v29, v5, v3 offset0:72 offset1:84
	;; [unrolled: 1-line block ×4, first 2 shown]
	ds_write_b32 v29, v9 offset:576
	s_waitcnt lgkmcnt(0)
	s_barrier
	buffer_gl0_inv
	s_and_saveexec_b32 s4, vcc_lo
	s_cbranch_execz .LBB0_14
; %bb.13:
	v_mul_lo_u16 v1, v15, 20
	v_mov_b32_e32 v37, 2
	s_add_u32 s4, s28, s14
	s_addc_u32 s5, s29, s15
	v_lshrrev_b16 v1, 8, v1
	v_mul_lo_u16 v1, v1, 13
	v_sub_nc_u16 v1, v15, v1
	v_mul_i32_i24_e32 v15, 0xfffffdc0, v15
	v_and_b32_e32 v17, 0xff, v1
	v_mul_u32_u24_e32 v1, 12, v17
	v_add_nc_u32_e32 v18, 0x9c, v17
	v_add_nc_u32_e32 v19, 0x8f, v17
	v_add_nc_u32_e32 v20, 0x82, v17
	v_add_nc_u32_e32 v21, 0x75, v17
	v_lshlrev_b32_e32 v9, 2, v1
	v_add_nc_u32_e32 v22, 0x68, v17
	v_mul_lo_u32 v18, v13, v18
	v_add_nc_u32_e32 v23, 0x5b, v17
	v_mul_lo_u32 v19, v13, v19
	s_clause 0x2
	global_load_dwordx4 v[1:4], v9, s[30:31] offset:16
	global_load_dwordx4 v[5:8], v9, s[30:31]
	global_load_dwordx4 v[9:12], v9, s[30:31] offset:32
	v_mul_lo_u32 v20, v13, v20
	v_mul_lo_u32 v21, v13, v21
	;; [unrolled: 1-line block ×4, first 2 shown]
	v_lshlrev_b32_sdwa v24, v37, v18 dst_sel:DWORD dst_unused:UNUSED_PAD src0_sel:DWORD src1_sel:BYTE_0
	v_lshlrev_b32_sdwa v18, v37, v18 dst_sel:DWORD dst_unused:UNUSED_PAD src0_sel:DWORD src1_sel:BYTE_1
	v_lshlrev_b32_sdwa v25, v37, v19 dst_sel:DWORD dst_unused:UNUSED_PAD src0_sel:DWORD src1_sel:BYTE_0
	v_lshlrev_b32_sdwa v19, v37, v19 dst_sel:DWORD dst_unused:UNUSED_PAD src0_sel:DWORD src1_sel:BYTE_1
	;; [unrolled: 2-line block ×5, first 2 shown]
	v_lshlrev_b32_sdwa v29, v37, v23 dst_sel:DWORD dst_unused:UNUSED_PAD src0_sel:DWORD src1_sel:BYTE_0
	s_clause 0xa
	global_load_dword v105, v24, s[12:13]
	global_load_dword v106, v18, s[12:13] offset:1024
	global_load_dword v107, v25, s[12:13]
	global_load_dword v108, v19, s[12:13] offset:1024
	;; [unrolled: 2-line block ×5, first 2 shown]
	global_load_dword v104, v29, s[12:13]
	v_lshlrev_b32_e32 v18, 2, v16
	v_add3_u32 v18, v14, v15, v18
	ds_read2_b32 v[14:15], v18 offset1:156
	ds_read_b32 v46, v18 offset:7488
	v_add_nc_u32_e32 v19, 0xe00, v18
	v_add_nc_u32_e32 v20, 0x900, v18
	v_add_nc_u32_e32 v21, 0x1200, v18
	v_add_nc_u32_e32 v22, 0x400, v18
	ds_read2_b32 v[28:29], v19 offset0:40 offset1:196
	v_add_nc_u32_e32 v19, 0x1800, v18
	ds_read2_b32 v[38:39], v20 offset0:48 offset1:204
	ds_read2_b32 v[40:41], v21 offset0:96 offset1:252
	;; [unrolled: 1-line block ×4, first 2 shown]
	v_add_nc_u32_e32 v19, 0x4e, v17
	v_add_nc_u32_e32 v20, 0x41, v17
	ds_read_u16 v24, v18 offset:2498
	v_mul_lo_u32 v18, v13, v19
	v_mul_lo_u32 v19, v13, v20
	v_lshlrev_b32_sdwa v20, v37, v23 dst_sel:DWORD dst_unused:UNUSED_PAD src0_sel:DWORD src1_sel:BYTE_1
	s_waitcnt lgkmcnt(7)
	v_lshrrev_b32_e32 v47, 16, v15
	s_waitcnt lgkmcnt(6)
	v_lshrrev_b32_e32 v48, 16, v46
	v_lshlrev_b32_sdwa v21, v37, v18 dst_sel:DWORD dst_unused:UNUSED_PAD src0_sel:DWORD src1_sel:BYTE_0
	v_lshlrev_b32_sdwa v18, v37, v18 dst_sel:DWORD dst_unused:UNUSED_PAD src0_sel:DWORD src1_sel:BYTE_1
	v_lshlrev_b32_sdwa v22, v37, v19 dst_sel:DWORD dst_unused:UNUSED_PAD src0_sel:DWORD src1_sel:BYTE_0
	v_lshlrev_b32_sdwa v19, v37, v19 dst_sel:DWORD dst_unused:UNUSED_PAD src0_sel:DWORD src1_sel:BYTE_1
	s_clause 0x4
	global_load_dword v115, v20, s[12:13] offset:1024
	global_load_dword v70, v21, s[12:13]
	global_load_dword v71, v18, s[12:13] offset:1024
	global_load_dword v65, v22, s[12:13]
	global_load_dword v64, v19, s[12:13] offset:1024
	s_waitcnt lgkmcnt(5)
	v_lshrrev_b32_e32 v30, 16, v28
	v_lshrrev_b32_e32 v31, 16, v29
	s_waitcnt lgkmcnt(4)
	v_lshrrev_b32_e32 v33, 16, v39
	s_waitcnt lgkmcnt(3)
	v_lshrrev_b32_e32 v35, 16, v40
	v_lshrrev_b32_e32 v49, 16, v41
	s_waitcnt lgkmcnt(2)
	v_lshrrev_b32_e32 v50, 16, v43
	s_waitcnt lgkmcnt(1)
	v_lshrrev_b32_e32 v51, 16, v44
	v_lshrrev_b32_e32 v52, 16, v42
	v_lshrrev_b32_e32 v53, 16, v45
	s_waitcnt vmcnt(18)
	v_mul_f16_sdwa v25, v28, v2 dst_sel:DWORD dst_unused:UNUSED_PAD src0_sel:DWORD src1_sel:WORD_1
	s_waitcnt vmcnt(17)
	v_mul_f16_sdwa v36, v5, v15 dst_sel:DWORD dst_unused:UNUSED_PAD src0_sel:WORD_1 src1_sel:DWORD
	s_waitcnt vmcnt(16)
	v_mul_f16_sdwa v18, v46, v12 dst_sel:DWORD dst_unused:UNUSED_PAD src0_sel:DWORD src1_sel:WORD_1
	v_mul_f16_sdwa v23, v29, v3 dst_sel:DWORD dst_unused:UNUSED_PAD src0_sel:DWORD src1_sel:WORD_1
	;; [unrolled: 1-line block ×9, first 2 shown]
	v_mul_f16_sdwa v34, v6, v42 dst_sel:DWORD dst_unused:UNUSED_PAD src0_sel:WORD_1 src1_sel:DWORD
	v_mul_f16_sdwa v19, v45, v11 dst_sel:DWORD dst_unused:UNUSED_PAD src0_sel:DWORD src1_sel:WORD_1
	v_mul_f16_sdwa v66, v5, v47 dst_sel:DWORD dst_unused:UNUSED_PAD src0_sel:WORD_1 src1_sel:DWORD
	v_mul_f16_sdwa v67, v48, v12 dst_sel:DWORD dst_unused:UNUSED_PAD src0_sel:DWORD src1_sel:WORD_1
	v_fmac_f16_e32 v36, v5, v47
	v_fmac_f16_e32 v18, v48, v12
	v_mul_f16_sdwa v22, v40, v4 dst_sel:DWORD dst_unused:UNUSED_PAD src0_sel:DWORD src1_sel:WORD_1
	v_mul_f16_sdwa v27, v8, v38 dst_sel:DWORD dst_unused:UNUSED_PAD src0_sel:WORD_1 src1_sel:DWORD
	s_waitcnt lgkmcnt(0)
	v_mul_f16_sdwa v58, v24, v8 dst_sel:DWORD dst_unused:UNUSED_PAD src0_sel:DWORD src1_sel:WORD_1
	v_mul_f16_sdwa v32, v7, v43 dst_sel:DWORD dst_unused:UNUSED_PAD src0_sel:WORD_1 src1_sel:DWORD
	v_mul_f16_sdwa v20, v44, v10 dst_sel:DWORD dst_unused:UNUSED_PAD src0_sel:DWORD src1_sel:WORD_1
	v_mul_f16_sdwa v60, v7, v50 dst_sel:DWORD dst_unused:UNUSED_PAD src0_sel:WORD_1 src1_sel:DWORD
	;; [unrolled: 2-line block ×3, first 2 shown]
	v_mul_f16_sdwa v63, v53, v11 dst_sel:DWORD dst_unused:UNUSED_PAD src0_sel:DWORD src1_sel:WORD_1
	v_fmac_f16_e32 v25, v30, v2
	v_fmac_f16_e32 v23, v31, v3
	v_fma_f16 v31, v28, v2, -v54
	v_fma_f16 v30, v29, v3, -v55
	v_fmac_f16_e32 v26, v33, v1
	v_fma_f16 v33, v39, v1, -v56
	v_fma_f16 v29, v40, v4, -v57
	v_fmac_f16_e32 v21, v49, v9
	v_fma_f16 v28, v41, v9, -v59
	v_fmac_f16_e32 v34, v6, v52
	v_fmac_f16_e32 v19, v53, v11
	v_fma_f16 v40, v5, v15, -v66
	v_fma_f16 v9, v46, v12, -v67
	s_waitcnt vmcnt(15)
	v_lshrrev_b32_e32 v1, 16, v105
	v_add_f16_e32 v122, v36, v18
	v_sub_f16_e32 v128, v36, v18
	v_fmac_f16_e32 v22, v35, v4
	v_fmac_f16_e32 v27, v24, v8
	v_fma_f16 v35, v8, v38, -v58
	v_fmac_f16_e32 v32, v7, v50
	v_fmac_f16_e32 v20, v51, v10
	v_fma_f16 v38, v7, v43, -v60
	v_fma_f16 v24, v44, v10, -v61
	;; [unrolled: 1-line block ×4, first 2 shown]
	s_waitcnt vmcnt(14)
	v_mul_f16_sdwa v2, v105, v106 dst_sel:DWORD dst_unused:UNUSED_PAD src0_sel:DWORD src1_sel:WORD_1
	s_waitcnt vmcnt(13)
	v_lshrrev_b32_e32 v3, 16, v107
	s_waitcnt vmcnt(12)
	v_mul_f16_sdwa v4, v107, v108 dst_sel:DWORD dst_unused:UNUSED_PAD src0_sel:DWORD src1_sel:WORD_1
	s_waitcnt vmcnt(11)
	v_lshrrev_b32_e32 v5, 16, v109
	;; [unrolled: 4-line block ×4, first 2 shown]
	s_waitcnt vmcnt(6)
	v_mul_f16_sdwa v12, v113, v114 dst_sel:DWORD dst_unused:UNUSED_PAD src0_sel:DWORD src1_sel:WORD_1
	v_add_f16_e32 v121, v34, v19
	v_sub_f16_e32 v50, v40, v9
	v_sub_f16_e32 v127, v34, v19
	v_add_f16_e32 v56, v40, v9
	v_mul_f16_sdwa v129, v1, v106 dst_sel:DWORD dst_unused:UNUSED_PAD src0_sel:DWORD src1_sel:WORD_1
	v_mul_f16_e32 v61, 0x3b15, v122
	v_mul_f16_e32 v63, 0xb770, v128
	v_add_f16_e32 v120, v32, v20
	v_sub_f16_e32 v46, v39, v10
	v_sub_f16_e32 v126, v32, v20
	v_add_f16_e32 v53, v39, v10
	v_fmac_f16_e32 v2, v1, v106
	v_mul_f16_sdwa v1, v3, v108 dst_sel:DWORD dst_unused:UNUSED_PAD src0_sel:DWORD src1_sel:WORD_1
	v_fmac_f16_e32 v4, v3, v108
	v_mul_f16_sdwa v3, v5, v110 dst_sel:DWORD dst_unused:UNUSED_PAD src0_sel:DWORD src1_sel:WORD_1
	;; [unrolled: 2-line block ×4, first 2 shown]
	v_fmac_f16_e32 v12, v11, v114
	v_mul_f16_e32 v59, 0x388b, v121
	v_mul_f16_e32 v62, 0xba95, v127
	v_fmamk_f16 v11, v56, 0x3b15, v63
	v_fma_f16 v105, v105, v106, -v129
	v_fmamk_f16 v106, v50, 0x3770, v61
	v_add_f16_e32 v119, v27, v21
	v_sub_f16_e32 v51, v38, v24
	v_sub_f16_e32 v125, v27, v21
	v_add_f16_e32 v45, v38, v24
	v_mul_f16_e32 v57, 0x2fb7, v120
	v_mul_f16_e32 v60, 0xbbf1, v126
	v_fmamk_f16 v129, v53, 0x388b, v62
	v_add_f16_e32 v11, v11, v14
	v_fma_f16 v107, v107, v108, -v1
	v_fmamk_f16 v1, v46, 0x3a95, v59
	v_add_f16_sdwa v106, v106, v14 dst_sel:DWORD dst_unused:UNUSED_PAD src0_sel:DWORD src1_sel:WORD_1
	v_add_f16_e32 v118, v26, v22
	v_sub_f16_e32 v49, v35, v28
	v_sub_f16_e32 v124, v26, v22
	v_add_f16_e32 v43, v35, v28
	v_mul_f16_e32 v54, 0xb5ac, v119
	v_mul_f16_e32 v58, 0xbb7b, v125
	v_fmamk_f16 v108, v45, 0x2fb7, v60
	v_add_f16_e32 v11, v129, v11
	v_add_f16_e32 v1, v1, v106
	v_fmamk_f16 v106, v51, 0x3bf1, v57
	v_add_f16_e32 v117, v25, v23
	v_sub_f16_e32 v48, v33, v29
	v_sub_f16_e32 v123, v25, v23
	v_add_f16_e32 v41, v33, v29
	v_mul_f16_e32 v44, 0xb9fd, v118
	v_mul_f16_e32 v55, 0xb94e, v124
	v_add_f16_e32 v11, v108, v11
	v_fmamk_f16 v108, v43, 0xb5ac, v58
	v_fma_f16 v109, v109, v110, -v3
	v_fmamk_f16 v3, v49, 0x3b7b, v54
	v_add_f16_e32 v1, v106, v1
	v_sub_f16_e32 v47, v31, v30
	v_add_f16_e32 v15, v31, v30
	v_mul_f16_e32 v42, 0xbbc4, v117
	v_mul_f16_e32 v52, 0xb3a8, v123
	v_fmamk_f16 v106, v41, 0xb9fd, v55
	v_add_f16_e32 v11, v108, v11
	v_fmamk_f16 v110, v48, 0x394e, v44
	v_add_f16_e32 v1, v3, v1
	v_mul_f16_e32 v76, 0x388b, v122
	v_fmamk_f16 v3, v15, 0xbbc4, v52
	v_add_f16_e32 v11, v106, v11
	v_fma_f16 v106, v111, v112, -v5
	v_fmamk_f16 v5, v47, 0x33a8, v42
	v_add_f16_e32 v1, v110, v1
	v_mul_f16_e32 v74, 0xb5ac, v121
	v_add_f16_e32 v3, v3, v11
	v_fmamk_f16 v11, v50, 0x3a95, v76
	v_mul_f16_e32 v79, 0xba95, v128
	v_add_f16_e32 v5, v5, v1
	v_mul_f16_e32 v90, 0xbbf1, v128
	v_mul_f16_e32 v102, 0xb5ac, v122
	v_fma_f16 v110, v113, v114, -v7
	v_fmamk_f16 v7, v46, 0x3b7b, v74
	v_mul_f16_e32 v1, v3, v2
	v_mul_f16_e32 v2, v5, v2
	v_add_f16_sdwa v11, v11, v14 dst_sel:DWORD dst_unused:UNUSED_PAD src0_sel:DWORD src1_sel:WORD_1
	v_mul_f16_e32 v78, 0xbb7b, v127
	v_mul_f16_e32 v91, 0x2fb7, v122
	;; [unrolled: 1-line block ×4, first 2 shown]
	v_fmamk_f16 v112, v56, 0x388b, v79
	v_fma_f16 v2, v3, v105, -v2
	v_fmamk_f16 v3, v56, 0x2fb7, v90
	v_add_f16_e32 v7, v7, v11
	v_fmamk_f16 v11, v50, 0x3b7b, v102
	v_mul_f16_e32 v72, 0xbbc4, v120
	v_mul_f16_e32 v77, 0xb3a8, v126
	;; [unrolled: 1-line block ×4, first 2 shown]
	v_fmamk_f16 v111, v53, 0xb5ac, v78
	v_fmamk_f16 v114, v50, 0x3bf1, v91
	v_fmac_f16_e32 v1, v5, v105
	v_fmamk_f16 v5, v53, 0xbbc4, v88
	v_add_f16_e32 v105, v112, v14
	v_fmamk_f16 v112, v46, 0xb94e, v100
	v_add_f16_e32 v3, v3, v14
	v_add_f16_sdwa v11, v11, v14 dst_sel:DWORD dst_unused:UNUSED_PAD src0_sel:DWORD src1_sel:WORD_1
	v_mul_f16_e32 v86, 0x3b7b, v126
	v_mul_f16_e32 v98, 0x3b15, v120
	;; [unrolled: 1-line block ×3, first 2 shown]
	v_fmamk_f16 v113, v46, 0x33a8, v89
	v_add_f16_sdwa v114, v114, v14 dst_sel:DWORD dst_unused:UNUSED_PAD src0_sel:DWORD src1_sel:WORD_1
	v_add_f16_e32 v105, v111, v105
	v_fmamk_f16 v111, v56, 0xb5ac, v103
	v_add_f16_e32 v3, v5, v3
	v_fmamk_f16 v5, v51, 0x33a8, v72
	;; [unrolled: 2-line block ×3, first 2 shown]
	v_mul_f16_e32 v68, 0xb9fd, v119
	v_mul_f16_e32 v75, 0x394e, v125
	;; [unrolled: 1-line block ×3, first 2 shown]
	v_add_f16_e32 v113, v113, v114
	v_fmamk_f16 v114, v53, 0xb9fd, v101
	v_add_f16_e32 v111, v111, v14
	v_add_f16_e32 v5, v5, v7
	v_fmamk_f16 v7, v45, 0xb5ac, v86
	v_add_f16_e32 v105, v112, v105
	v_fmamk_f16 v112, v51, 0xb770, v98
	v_mul_f16_e32 v84, 0x3770, v125
	v_mul_f16_e32 v96, 0x2fb7, v119
	v_mul_f16_e32 v99, 0x3770, v126
	v_add_f16_e32 v111, v114, v111
	v_fmamk_f16 v114, v51, 0xbb7b, v87
	v_add_f16_e32 v3, v7, v3
	v_fmamk_f16 v7, v49, 0xb94e, v68
	v_add_f16_e32 v11, v112, v11
	v_fmamk_f16 v112, v43, 0xb9fd, v75
	v_mul_f16_e32 v67, 0x2fb7, v118
	v_mul_f16_e32 v73, 0x3bf1, v124
	v_mul_f16_e32 v85, 0x3b15, v119
	v_add_f16_e32 v113, v114, v113
	v_fmamk_f16 v114, v45, 0x3b15, v99
	;; [unrolled: 9-line block ×4, first 2 shown]
	v_add_f16_e32 v5, v7, v5
	v_fmamk_f16 v7, v41, 0x388b, v82
	v_add_f16_e32 v105, v112, v105
	v_fmamk_f16 v112, v48, 0xb3a8, v94
	v_mul_f16_e32 v81, 0xb94e, v123
	v_mul_f16_e32 v95, 0x33a8, v124
	v_add_f16_e32 v111, v114, v111
	v_fmamk_f16 v114, v48, 0x3a95, v83
	v_add_f16_e32 v3, v7, v3
	v_fmamk_f16 v7, v47, 0xb770, v66
	;; [unrolled: 2-line block ×3, first 2 shown]
	v_mul_f16_e32 v80, 0xb9fd, v117
	v_mul_f16_e32 v93, 0x3a95, v123
	v_add_f16_e32 v113, v114, v113
	v_fmamk_f16 v114, v41, 0xbbc4, v95
	v_add_f16_e32 v5, v7, v5
	v_add_f16_e32 v7, v112, v105
	v_fmamk_f16 v105, v15, 0xb9fd, v81
	v_mul_f16_e32 v92, 0x388b, v117
	v_add_f16_e32 v111, v114, v111
	v_fmamk_f16 v114, v47, 0x394e, v80
	v_mul_f16_e32 v131, 0x3b15, v118
	;; [unrolled: 3-line block ×3, first 2 shown]
	v_mul_f16_e32 v133, 0x388b, v120
	v_mul_f16_e32 v134, 0x2fb7, v121
	;; [unrolled: 1-line block ×6, first 2 shown]
	v_add_f16_e32 v112, v114, v113
	v_mul_f16_e32 v113, 0xb94e, v128
	v_mul_f16_e32 v114, 0xb5ac, v118
	;; [unrolled: 1-line block ×7, first 2 shown]
	v_add_f16_e32 v111, v3, v111
	v_mul_f16_e32 v3, v7, v4
	v_mul_f16_e32 v125, 0xb94e, v126
	;; [unrolled: 1-line block ×5, first 2 shown]
	v_fmamk_f16 v128, v47, 0xba95, v92
	v_fmac_f16_e32 v3, v5, v107
	v_fma_f16 v4, v7, v107, -v4
	v_mul_f16_e32 v5, v105, v6
	v_mul_f16_e32 v6, v112, v6
	v_add_f16_e32 v11, v128, v11
	v_mul_f16_e32 v7, v111, v8
	v_fmamk_f16 v128, v50, 0x394e, v135
	v_fmac_f16_e32 v5, v112, v109
	v_fma_f16 v6, v105, v109, -v6
	v_mul_f16_e32 v8, v11, v8
	v_fmamk_f16 v109, v56, 0xb9fd, v113
	v_fmac_f16_e32 v7, v11, v106
	v_fmamk_f16 v11, v50, 0x33a8, v121
	v_fmamk_f16 v107, v46, 0xbbf1, v134
	;; [unrolled: 1-line block ×3, first 2 shown]
	v_add_f16_sdwa v112, v128, v14 dst_sel:DWORD dst_unused:UNUSED_PAD src0_sel:DWORD src1_sel:WORD_1
	v_fma_f16 v8, v111, v106, -v8
	v_fmamk_f16 v106, v46, 0xb770, v120
	v_fmamk_f16 v111, v56, 0xbbc4, v127
	v_add_f16_e32 v109, v109, v14
	v_add_f16_sdwa v11, v11, v14 dst_sel:DWORD dst_unused:UNUSED_PAD src0_sel:DWORD src1_sel:WORD_1
	v_add_f16_e32 v107, v107, v112
	v_fmamk_f16 v112, v53, 0x3b15, v126
	v_add_f16_e32 v111, v111, v14
	v_add_f16_e32 v105, v105, v109
	v_fmamk_f16 v109, v51, 0x3a95, v133
	v_add_f16_e32 v11, v106, v11
	v_fmamk_f16 v106, v45, 0x388b, v108
	v_mul_f16_e32 v129, 0x3770, v124
	v_add_f16_e32 v111, v112, v111
	v_fmamk_f16 v112, v51, 0x394e, v119
	v_add_f16_e32 v107, v109, v107
	v_fmamk_f16 v109, v45, 0xb9fd, v125
	;; [unrolled: 2-line block ×3, first 2 shown]
	v_mul_f16_e32 v136, 0xbb7b, v123
	v_add_f16_e32 v11, v112, v11
	v_fmamk_f16 v112, v49, 0xb3a8, v132
	v_add_f16_e32 v109, v109, v111
	v_fmamk_f16 v111, v49, 0xba95, v118
	;; [unrolled: 2-line block ×3, first 2 shown]
	v_mul_f16_e32 v130, 0xb5ac, v117
	v_add_f16_e32 v107, v112, v107
	v_add_f16_e32 v111, v111, v11
	v_fmamk_f16 v11, v48, 0xb770, v131
	v_add_f16_e32 v105, v106, v105
	v_fmamk_f16 v106, v15, 0xb5ac, v136
	v_fmamk_f16 v112, v43, 0x388b, v122
	v_mul_f16_e32 v124, 0xbb7b, v124
	v_add_f16_e32 v11, v11, v107
	v_fmamk_f16 v107, v47, 0x3b7b, v130
	v_add_f16_e32 v105, v106, v105
	v_fmamk_f16 v106, v48, 0x3b7b, v114
	v_add_f16_e32 v109, v112, v109
	v_mul_f16_e32 v117, 0x2fb7, v117
	v_add_f16_e32 v107, v107, v11
	v_mul_f16_e32 v11, v105, v12
	v_add_f16_e32 v106, v106, v111
	v_fmamk_f16 v111, v41, 0xb5ac, v124
	v_mul_f16_e32 v123, 0x3bf1, v123
	s_waitcnt vmcnt(5)
	v_lshrrev_b32_e32 v116, 16, v104
	v_mul_f16_e32 v12, v107, v12
	v_fmac_f16_e32 v11, v107, v110
	v_fmamk_f16 v107, v47, 0xbbf1, v117
	v_add_f16_e32 v109, v111, v109
	v_fmamk_f16 v111, v15, 0x2fb7, v123
	s_waitcnt vmcnt(4)
	v_mul_f16_sdwa v112, v116, v115 dst_sel:DWORD dst_unused:UNUSED_PAD src0_sel:DWORD src1_sel:WORD_1
	v_fmac_f16_e32 v121, 0xb3a8, v50
	v_fma_f16 v12, v105, v110, -v12
	v_add_f16_e32 v105, v107, v106
	v_add_f16_e32 v107, v111, v109
	v_add_nc_u32_e32 v109, 52, v17
	v_add_nc_u32_e32 v110, 39, v17
	v_fma_f16 v106, v104, v115, -v112
	v_mul_f16_sdwa v104, v104, v115 dst_sel:DWORD dst_unused:UNUSED_PAD src0_sel:DWORD src1_sel:WORD_1
	v_add_nc_u32_e32 v111, 26, v17
	v_add_f16_sdwa v112, v121, v14 dst_sel:DWORD dst_unused:UNUSED_PAD src0_sel:DWORD src1_sel:WORD_1
	v_add_nc_u32_e32 v121, 13, v17
	v_mul_lo_u32 v109, v13, v109
	v_mul_lo_u32 v110, v13, v110
	v_fmac_f16_e32 v104, v116, v115
	v_mul_lo_u32 v111, v13, v111
	v_mul_lo_u32 v115, v13, v121
	;; [unrolled: 1-line block ×3, first 2 shown]
	v_fmac_f16_e32 v120, 0x3770, v46
	v_fma_f16 v127, v56, 0xbbc4, -v127
	v_lshlrev_b32_sdwa v116, v37, v109 dst_sel:DWORD dst_unused:UNUSED_PAD src0_sel:DWORD src1_sel:BYTE_0
	v_lshlrev_b32_sdwa v109, v37, v109 dst_sel:DWORD dst_unused:UNUSED_PAD src0_sel:DWORD src1_sel:BYTE_1
	v_fma_f16 v126, v53, 0x3b15, -v126
	v_add_f16_e32 v112, v120, v112
	v_lshlrev_b32_sdwa v120, v37, v110 dst_sel:DWORD dst_unused:UNUSED_PAD src0_sel:DWORD src1_sel:BYTE_0
	v_lshlrev_b32_sdwa v110, v37, v110 dst_sel:DWORD dst_unused:UNUSED_PAD src0_sel:DWORD src1_sel:BYTE_1
	v_lshlrev_b32_sdwa v121, v37, v111 dst_sel:DWORD dst_unused:UNUSED_PAD src0_sel:DWORD src1_sel:BYTE_0
	v_lshlrev_b32_sdwa v111, v37, v111 dst_sel:DWORD dst_unused:UNUSED_PAD src0_sel:DWORD src1_sel:BYTE_1
	;; [unrolled: 2-line block ×4, first 2 shown]
	s_clause 0x9
	global_load_dword v37, v116, s[12:13]
	global_load_dword v109, v109, s[12:13] offset:1024
	global_load_dword v116, v120, s[12:13]
	global_load_dword v110, v110, s[12:13] offset:1024
	;; [unrolled: 2-line block ×5, first 2 shown]
	v_add_f16_e32 v127, v127, v14
	v_fma_f16 v125, v45, 0xb9fd, -v125
	v_fmac_f16_e32 v119, 0xb94e, v51
	v_fma_f16 v122, v43, 0x388b, -v122
	v_fmac_f16_e32 v118, 0x3a95, v49
	v_add_f16_e32 v126, v126, v127
	v_mul_f16_e32 v127, v107, v104
	v_add_f16_e32 v112, v119, v112
	v_mul_f16_e32 v104, v105, v104
	v_fmac_f16_e32 v114, 0xbb7b, v48
	v_add_f16_e32 v125, v125, v126
	v_fmac_f16_e32 v127, v105, v106
	v_fma_f16 v105, v41, 0xb5ac, -v124
	v_add_f16_e32 v112, v118, v112
	s_waitcnt vmcnt(13)
	v_lshrrev_b32_e32 v118, 16, v70
	v_add_f16_e32 v119, v122, v125
	v_fma_f16 v122, v15, 0x2fb7, -v123
	v_fma_f16 v104, v107, v106, -v104
	;; [unrolled: 1-line block ×3, first 2 shown]
	v_fmac_f16_e32 v117, 0x3bf1, v47
	v_add_f16_e32 v105, v105, v119
	s_waitcnt vmcnt(12)
	v_mul_f16_sdwa v119, v70, v71 dst_sel:DWORD dst_unused:UNUSED_PAD src0_sel:DWORD src1_sel:WORD_1
	v_add_f16_e32 v112, v114, v112
	v_mul_f16_sdwa v114, v118, v71 dst_sel:DWORD dst_unused:UNUSED_PAD src0_sel:DWORD src1_sel:WORD_1
	v_fma_f16 v107, v53, 0x2fb7, -v138
	v_add_f16_e32 v105, v122, v105
	v_fmac_f16_e32 v119, v118, v71
	v_add_f16_e32 v106, v106, v14
	v_fmac_f16_e32 v135, 0xb94e, v50
	v_add_f16_e32 v112, v117, v112
	v_fma_f16 v70, v70, v71, -v114
	v_mul_f16_e32 v114, v105, v119
	v_fma_f16 v108, v45, 0x388b, -v108
	v_add_f16_e32 v106, v107, v106
	v_fmac_f16_e32 v134, 0x3bf1, v46
	v_add_f16_sdwa v71, v135, v14 dst_sel:DWORD dst_unused:UNUSED_PAD src0_sel:DWORD src1_sel:WORD_1
	v_fmac_f16_e32 v114, v112, v70
	v_mul_f16_e32 v112, v112, v119
	v_fma_f16 v107, v43, 0xbbc4, -v137
	v_add_f16_e32 v106, v108, v106
	s_waitcnt vmcnt(11)
	v_lshrrev_b32_e32 v108, 16, v65
	v_fmac_f16_e32 v91, 0xbbf1, v50
	v_fmac_f16_e32 v133, 0xba95, v51
	v_add_f16_e32 v71, v134, v71
	v_fma_f16 v70, v105, v70, -v112
	v_fma_f16 v105, v41, 0x3b15, -v129
	v_add_f16_e32 v106, v107, v106
	s_waitcnt vmcnt(10)
	v_mul_f16_sdwa v107, v108, v64 dst_sel:DWORD dst_unused:UNUSED_PAD src0_sel:DWORD src1_sel:WORD_1
	v_fmac_f16_e32 v102, 0xbb7b, v50
	v_fmac_f16_e32 v89, 0xb3a8, v46
	v_add_f16_sdwa v91, v91, v14 dst_sel:DWORD dst_unused:UNUSED_PAD src0_sel:DWORD src1_sel:WORD_1
	v_add_f16_e32 v40, v40, v14
	v_fmac_f16_e32 v132, 0x33a8, v49
	v_add_f16_e32 v71, v133, v71
	v_add_f16_e32 v105, v105, v106
	v_fma_f16 v106, v65, v64, -v107
	v_fmac_f16_e32 v100, 0x394e, v46
	v_add_f16_sdwa v102, v102, v14 dst_sel:DWORD dst_unused:UNUSED_PAD src0_sel:DWORD src1_sel:WORD_1
	v_mul_f16_sdwa v65, v65, v64 dst_sel:DWORD dst_unused:UNUSED_PAD src0_sel:DWORD src1_sel:WORD_1
	v_fma_f16 v103, v56, 0xb5ac, -v103
	v_fmac_f16_e32 v87, 0x3b7b, v51
	v_add_f16_e32 v89, v89, v91
	v_fma_f16 v90, v56, 0x2fb7, -v90
	v_fma_f16 v79, v56, 0x388b, -v79
	v_fmac_f16_e32 v76, 0xba95, v50
	v_fmac_f16_e32 v74, 0xbb7b, v46
	v_add_f16_sdwa v36, v36, v14 dst_sel:DWORD dst_unused:UNUSED_PAD src0_sel:DWORD src1_sel:WORD_1
	v_fmac_f16_e32 v61, 0xb770, v50
	v_fmac_f16_e32 v59, 0xba95, v46
	v_fma_f16 v46, v56, 0x3b15, -v63
	v_add_f16_e32 v39, v40, v39
	v_fmac_f16_e32 v131, 0x3770, v48
	v_add_f16_e32 v71, v132, v71
	v_fma_f16 v112, v15, 0xb5ac, -v136
	v_fmac_f16_e32 v98, 0x3770, v51
	v_add_f16_e32 v100, v100, v102
	v_fmac_f16_e32 v65, v108, v64
	v_fma_f16 v64, v53, 0xb9fd, -v101
	v_add_f16_e32 v101, v103, v14
	v_add_f16_e32 v87, v87, v89
	;; [unrolled: 1-line block ×4, first 2 shown]
	v_add_f16_sdwa v76, v76, v14 dst_sel:DWORD dst_unused:UNUSED_PAD src0_sel:DWORD src1_sel:WORD_1
	v_add_f16_e32 v34, v36, v34
	v_add_f16_sdwa v36, v61, v14 dst_sel:DWORD dst_unused:UNUSED_PAD src0_sel:DWORD src1_sel:WORD_1
	v_fma_f16 v40, v53, 0x388b, -v62
	v_add_f16_e32 v14, v46, v14
	v_add_f16_e32 v38, v39, v38
	v_fmac_f16_e32 v130, 0xbb7b, v47
	v_add_f16_e32 v71, v131, v71
	v_add_f16_e32 v105, v112, v105
	v_fmac_f16_e32 v96, 0xbbf1, v49
	v_add_f16_e32 v98, v98, v100
	v_fma_f16 v99, v45, 0x3b15, -v99
	v_add_f16_e32 v64, v64, v101
	v_fmac_f16_e32 v57, 0xbbf1, v51
	v_add_f16_e32 v32, v34, v32
	v_add_f16_e32 v34, v59, v36
	v_fma_f16 v36, v45, 0x2fb7, -v60
	v_add_f16_e32 v14, v40, v14
	v_add_f16_e32 v35, v38, v35
	;; [unrolled: 1-line block ×3, first 2 shown]
	v_mul_f16_e32 v100, v105, v65
	v_fmac_f16_e32 v94, 0x33a8, v48
	v_add_f16_e32 v96, v96, v98
	v_fma_f16 v97, v43, 0x2fb7, -v97
	v_add_f16_e32 v64, v99, v64
	v_fmac_f16_e32 v85, 0x3770, v49
	v_fma_f16 v88, v53, 0xbbc4, -v88
	v_fma_f16 v78, v53, 0xb5ac, -v78
	v_fmac_f16_e32 v54, 0xbb7b, v49
	v_add_f16_e32 v27, v32, v27
	v_add_f16_e32 v32, v57, v34
	v_fma_f16 v34, v43, 0xb5ac, -v58
	v_add_f16_e32 v14, v36, v14
	v_add_f16_e32 v33, v35, v33
	v_mul_f16_e32 v65, v71, v65
	v_fmac_f16_e32 v92, 0x3a95, v47
	v_add_f16_e32 v94, v94, v96
	v_fmac_f16_e32 v100, v71, v106
	v_fma_f16 v71, v41, 0xbbc4, -v95
	v_add_f16_e32 v64, v97, v64
	v_fmac_f16_e32 v83, 0xba95, v48
	v_add_f16_e32 v85, v85, v87
	v_fma_f16 v86, v45, 0xb5ac, -v86
	v_add_f16_e32 v87, v88, v89
	v_fma_f16 v77, v45, 0xbbc4, -v77
	v_add_f16_e32 v78, v78, v79
	v_add_f16_e32 v26, v27, v26
	;; [unrolled: 1-line block ×3, first 2 shown]
	v_fma_f16 v32, v41, 0xb9fd, -v55
	v_add_f16_e32 v14, v34, v14
	v_add_f16_e32 v31, v33, v31
	;; [unrolled: 1-line block ×3, first 2 shown]
	v_fma_f16 v93, v15, 0x388b, -v93
	v_add_f16_e32 v64, v71, v64
	v_fmac_f16_e32 v80, 0xb94e, v47
	v_add_f16_e32 v83, v83, v85
	v_fma_f16 v84, v43, 0x3b15, -v84
	v_add_f16_e32 v85, v86, v87
	v_fmac_f16_e32 v72, 0xb3a8, v51
	v_add_f16_e32 v74, v74, v76
	v_fma_f16 v75, v43, 0xb9fd, -v75
	v_add_f16_e32 v77, v77, v78
	v_fma_f16 v81, v15, 0xb9fd, -v81
	v_fma_f16 v69, v15, 0x3b15, -v69
	v_add_f16_e32 v25, v26, v25
	v_fma_f16 v15, v15, 0xbbc4, -v52
	v_add_f16_e32 v14, v32, v14
	v_add_f16_e32 v30, v31, v30
	;; [unrolled: 1-line block ×4, first 2 shown]
	v_fma_f16 v82, v41, 0x388b, -v82
	v_add_f16_e32 v83, v84, v85
	v_add_f16_e32 v72, v72, v74
	v_fma_f16 v73, v41, 0x2fb7, -v73
	v_add_f16_e32 v74, v75, v77
	v_add_f16_e32 v23, v25, v23
	;; [unrolled: 1-line block ×6, first 2 shown]
	v_fmac_f16_e32 v44, 0xb94e, v48
	v_add_f16_e32 v22, v23, v22
	v_add_f16_e32 v15, v15, v28
	v_mov_b32_e32 v28, 0x1a5
	v_add_f16_e32 v81, v81, v82
	v_add_f16_e32 v69, v69, v73
	v_fmac_f16_e32 v42, 0xb3a8, v47
	v_add_f16_e32 v25, v44, v27
	v_add_f16_e32 v21, v22, v21
	v_mul_u32_u24_sdwa v0, v0, v28 dst_sel:DWORD dst_unused:UNUSED_PAD src0_sel:WORD_0 src1_sel:DWORD
	v_add_f16_e32 v15, v15, v24
	s_load_dwordx2 s[4:5], s[4:5], 0x0
	v_add_f16_e32 v25, v42, v25
	v_add_f16_e32 v20, v21, v20
	v_lshrrev_b32_e32 v0, 16, v0
	v_add_f16_e32 v10, v15, v10
	v_fmac_f16_e32 v68, 0x394e, v49
	v_fmac_f16_e32 v67, 0x3bf1, v48
	v_add_f16_e32 v15, v20, v19
	v_mul_lo_u16 v0, 0xa9, v0
	v_fmac_f16_e32 v66, 0x3770, v47
	v_add_f16_e32 v68, v68, v72
	v_fma_f16 v65, v105, v106, -v65
	v_add_f16_e32 v18, v15, v18
	v_add_f16_e32 v67, v67, v68
	;; [unrolled: 1-line block ×3, first 2 shown]
	s_waitcnt vmcnt(9)
	v_lshrrev_b32_e32 v94, 16, v37
	s_waitcnt vmcnt(8)
	v_mul_f16_sdwa v71, v37, v109 dst_sel:DWORD dst_unused:UNUSED_PAD src0_sel:DWORD src1_sel:WORD_1
	s_waitcnt vmcnt(7)
	v_lshrrev_b32_e32 v88, 16, v116
	s_waitcnt vmcnt(6)
	v_mul_f16_sdwa v76, v116, v110 dst_sel:DWORD dst_unused:UNUSED_PAD src0_sel:DWORD src1_sel:WORD_1
	s_waitcnt vmcnt(5)
	v_lshrrev_b32_e32 v72, 16, v120
	v_mul_f16_sdwa v95, v94, v109 dst_sel:DWORD dst_unused:UNUSED_PAD src0_sel:DWORD src1_sel:WORD_1
	v_fmac_f16_e32 v71, v94, v109
	v_mul_f16_sdwa v86, v88, v110 dst_sel:DWORD dst_unused:UNUSED_PAD src0_sel:DWORD src1_sel:WORD_1
	v_fmac_f16_e32 v76, v88, v110
	s_waitcnt vmcnt(2)
	v_mul_f16_sdwa v26, v121, v115 dst_sel:DWORD dst_unused:UNUSED_PAD src0_sel:DWORD src1_sel:WORD_1
	v_fma_f16 v37, v37, v109, -v95
	v_mul_f16_e32 v91, v64, v71
	v_mul_f16_e32 v71, v92, v71
	v_fma_f16 v84, v116, v110, -v86
	v_mul_f16_e32 v73, v80, v76
	s_waitcnt vmcnt(1)
	v_lshrrev_b32_e32 v21, 16, v128
	v_fmac_f16_e32 v91, v92, v37
	v_fma_f16 v37, v64, v37, -v71
	v_lshrrev_b32_e32 v64, 16, v121
	v_fma_f16 v71, v81, v84, -v73
	s_waitcnt vmcnt(0)
	v_mul_f16_sdwa v20, v128, v13 dst_sel:DWORD dst_unused:UNUSED_PAD src0_sel:DWORD src1_sel:WORD_1
	v_mul_f16_sdwa v19, v21, v13 dst_sel:DWORD dst_unused:UNUSED_PAD src0_sel:DWORD src1_sel:WORD_1
	;; [unrolled: 1-line block ×4, first 2 shown]
	v_fmac_f16_e32 v26, v64, v115
	v_fmac_f16_e32 v20, v21, v13
	v_fma_f16 v19, v128, v13, -v19
	v_mul_f16_sdwa v68, v72, v111 dst_sel:DWORD dst_unused:UNUSED_PAD src0_sel:DWORD src1_sel:WORD_1
	v_fma_f16 v23, v121, v115, -v73
	v_mul_f16_e32 v27, v26, v14
	v_mul_f16_e32 v24, v26, v25
	v_fmac_f16_e32 v74, v72, v111
	v_fma_f16 v67, v120, v111, -v68
	v_mul_f16_e32 v72, v81, v76
	v_fmac_f16_e32 v27, v23, v25
	v_add_f16_e32 v25, v10, v9
	v_mad_u64_u32 v[9:10], null, s2, v16, 0
	v_fma_f16 v21, v23, v14, -v24
	v_add_nc_u32_sdwa v23, v17, v0 dst_sel:DWORD dst_unused:UNUSED_PAD src0_sel:DWORD src1_sel:WORD_0
	v_mul_f16_e32 v24, v25, v20
	s_waitcnt lgkmcnt(0)
	s_mul_i32 s2, s5, s26
	v_mul_f16_e32 v68, v69, v74
	v_fmac_f16_e32 v72, v80, v84
	v_mov_b32_e32 v0, v10
	v_mad_u64_u32 v[13:14], null, s0, v23, 0
	v_mul_f16_e32 v10, v18, v20
	v_add_nc_u32_e32 v17, 13, v23
	v_mad_u64_u32 v[15:16], null, s3, v16, v[0:1]
	v_fmac_f16_e32 v24, v18, v19
	v_fma_f16 v19, v25, v19, -v10
	v_mov_b32_e32 v0, v14
	s_mul_hi_u32 s3, s4, s26
	v_add_nc_u32_e32 v20, 26, v23
	s_add_i32 s3, s3, s2
	v_mov_b32_e32 v10, v15
	v_mad_u64_u32 v[14:15], null, s1, v23, v[0:1]
	v_mad_u64_u32 v[15:16], null, s0, v17, 0
	s_mul_i32 s2, s4, s26
	v_lshlrev_b64 v[9:10], 2, v[9:10]
	s_lshl_b64 s[2:3], s[2:3], 2
	v_add_nc_u32_e32 v28, 39, v23
	s_add_u32 s4, s10, s2
	s_addc_u32 s5, s11, s3
	s_lshl_b64 s[2:3], s[24:25], 2
	v_mov_b32_e32 v0, v16
	s_add_u32 s2, s4, s2
	s_addc_u32 s3, s5, s3
	v_add_co_u32 v25, vcc_lo, s2, v9
	v_add_co_ci_u32_e32 v26, vcc_lo, s3, v10, vcc_lo
	v_lshlrev_b64 v[9:10], 2, v[13:14]
	v_mad_u64_u32 v[13:14], null, s1, v17, v[0:1]
	v_mad_u64_u32 v[17:18], null, s0, v20, 0
	v_pack_b32_f16 v19, v19, v24
	v_add_co_u32 v9, vcc_lo, v25, v9
	v_add_co_ci_u32_e32 v10, vcc_lo, v26, v10, vcc_lo
	v_mov_b32_e32 v16, v13
	v_mad_u64_u32 v[13:14], null, s0, v28, 0
	v_mov_b32_e32 v0, v18
	global_store_dword v[9:10], v19, off
	v_lshlrev_b64 v[15:16], 2, v[15:16]
	v_add_nc_u32_e32 v24, 52, v23
	v_fmac_f16_e32 v68, v66, v67
	v_mad_u64_u32 v[9:10], null, s1, v20, v[0:1]
	v_mov_b32_e32 v0, v14
	v_add_co_u32 v14, vcc_lo, v25, v15
	v_add_co_ci_u32_e32 v15, vcc_lo, v26, v16, vcc_lo
	v_mad_u64_u32 v[19:20], null, s1, v28, v[0:1]
	v_pack_b32_f16 v10, v21, v27
	v_mad_u64_u32 v[20:21], null, s0, v24, 0
	v_mov_b32_e32 v18, v9
	v_mul_f16_e32 v66, v66, v74
	global_store_dword v[14:15], v10, off
	v_mov_b32_e32 v14, v19
	v_add_nc_u32_e32 v27, 0x41, v23
	v_lshlrev_b64 v[9:10], 2, v[17:18]
	v_mov_b32_e32 v0, v21
	v_fma_f16 v22, v69, v67, -v66
	v_lshlrev_b64 v[13:14], 2, v[13:14]
	v_mad_u64_u32 v[15:16], null, s0, v27, 0
	v_add_co_u32 v9, vcc_lo, v25, v9
	v_mad_u64_u32 v[17:18], null, s1, v24, v[0:1]
	v_add_co_ci_u32_e32 v10, vcc_lo, v26, v10, vcc_lo
	v_add_co_u32 v13, vcc_lo, v25, v13
	v_pack_b32_f16 v18, v22, v68
	v_add_co_ci_u32_e32 v14, vcc_lo, v26, v14, vcc_lo
	v_pack_b32_f16 v19, v71, v72
	v_add_nc_u32_e32 v22, 0x4e, v23
	v_mov_b32_e32 v21, v17
	global_store_dword v[9:10], v18, off
	v_mov_b32_e32 v0, v16
	global_store_dword v[13:14], v19, off
	v_mad_u64_u32 v[13:14], null, s0, v22, 0
	v_lshlrev_b64 v[9:10], 2, v[20:21]
	v_add_nc_u32_e32 v21, 0x5b, v23
	v_mad_u64_u32 v[16:17], null, s1, v27, v[0:1]
	v_add_nc_u32_e32 v27, 0x68, v23
	v_pack_b32_f16 v24, v37, v91
	v_mov_b32_e32 v0, v14
	v_mad_u64_u32 v[17:18], null, s0, v21, 0
	v_add_co_u32 v9, vcc_lo, v25, v9
	v_mad_u64_u32 v[19:20], null, s1, v22, v[0:1]
	v_lshlrev_b64 v[15:16], 2, v[15:16]
	v_add_co_ci_u32_e32 v10, vcc_lo, v26, v10, vcc_lo
	v_mov_b32_e32 v0, v18
	v_pack_b32_f16 v22, v65, v100
	v_mov_b32_e32 v14, v19
	v_add_co_u32 v15, vcc_lo, v25, v15
	v_mad_u64_u32 v[18:19], null, s1, v21, v[0:1]
	v_mad_u64_u32 v[19:20], null, s0, v27, 0
	v_add_co_ci_u32_e32 v16, vcc_lo, v26, v16, vcc_lo
	global_store_dword v[9:10], v24, off
	v_lshlrev_b64 v[9:10], 2, v[13:14]
	v_add_nc_u32_e32 v21, 0x75, v23
	global_store_dword v[15:16], v22, off
	v_mov_b32_e32 v0, v20
	v_lshlrev_b64 v[13:14], 2, v[17:18]
	v_pack_b32_f16 v18, v70, v114
	v_add_co_u32 v9, vcc_lo, v25, v9
	v_mad_u64_u32 v[15:16], null, s1, v27, v[0:1]
	v_mad_u64_u32 v[16:17], null, s0, v21, 0
	v_add_co_ci_u32_e32 v10, vcc_lo, v26, v10, vcc_lo
	v_add_co_u32 v13, vcc_lo, v25, v13
	v_mov_b32_e32 v20, v15
	v_add_nc_u32_e32 v15, 0x82, v23
	v_add_co_ci_u32_e32 v14, vcc_lo, v26, v14, vcc_lo
	v_pack_b32_f16 v0, v104, v127
	v_add_nc_u32_e32 v22, 0x8f, v23
	global_store_dword v[9:10], v18, off
	global_store_dword v[13:14], v0, off
	v_mov_b32_e32 v0, v17
	v_mad_u64_u32 v[13:14], null, s0, v15, 0
	v_add_nc_u32_e32 v27, 0x9c, v23
	v_lshlrev_b64 v[9:10], 2, v[19:20]
	v_mad_u64_u32 v[18:19], null, s0, v22, 0
	v_pack_b32_f16 v24, v12, v11
	v_mad_u64_u32 v[11:12], null, s1, v21, v[0:1]
	v_mad_u64_u32 v[20:21], null, s0, v27, 0
	v_mov_b32_e32 v0, v14
	v_mov_b32_e32 v12, v19
	v_add_co_u32 v9, vcc_lo, v25, v9
	v_add_co_ci_u32_e32 v10, vcc_lo, v26, v10, vcc_lo
	v_mad_u64_u32 v[14:15], null, s1, v15, v[0:1]
	v_mov_b32_e32 v0, v21
	v_mad_u64_u32 v[22:23], null, s1, v22, v[12:13]
	v_mov_b32_e32 v17, v11
	global_store_dword v[9:10], v24, off
	v_mad_u64_u32 v[11:12], null, s1, v27, v[0:1]
	v_lshlrev_b64 v[12:13], 2, v[13:14]
	v_lshlrev_b64 v[9:10], 2, v[16:17]
	v_mov_b32_e32 v19, v22
	v_pack_b32_f16 v0, v8, v7
	v_pack_b32_f16 v14, v4, v3
	v_pack_b32_f16 v1, v2, v1
	v_mov_b32_e32 v21, v11
	v_add_co_u32 v9, vcc_lo, v25, v9
	v_add_co_ci_u32_e32 v10, vcc_lo, v26, v10, vcc_lo
	v_lshlrev_b64 v[7:8], 2, v[18:19]
	v_add_co_u32 v11, vcc_lo, v25, v12
	v_add_co_ci_u32_e32 v12, vcc_lo, v26, v13, vcc_lo
	v_pack_b32_f16 v13, v6, v5
	v_lshlrev_b64 v[5:6], 2, v[20:21]
	v_add_co_u32 v7, vcc_lo, v25, v7
	v_add_co_ci_u32_e32 v8, vcc_lo, v26, v8, vcc_lo
	v_add_co_u32 v3, vcc_lo, v25, v5
	v_add_co_ci_u32_e32 v4, vcc_lo, v26, v6, vcc_lo
	global_store_dword v[9:10], v0, off
	global_store_dword v[11:12], v13, off
	;; [unrolled: 1-line block ×4, first 2 shown]
.LBB0_14:
	s_endpgm
	.section	.rodata,"a",@progbits
	.p2align	6, 0x0
	.amdhsa_kernel fft_rtc_fwd_len169_factors_13_13_wgs_156_tpt_13_half_op_CI_CI_sbcc_twdbase8_2step_dirReg_intrinsicRead
		.amdhsa_group_segment_fixed_size 0
		.amdhsa_private_segment_fixed_size 0
		.amdhsa_kernarg_size 112
		.amdhsa_user_sgpr_count 6
		.amdhsa_user_sgpr_private_segment_buffer 1
		.amdhsa_user_sgpr_dispatch_ptr 0
		.amdhsa_user_sgpr_queue_ptr 0
		.amdhsa_user_sgpr_kernarg_segment_ptr 1
		.amdhsa_user_sgpr_dispatch_id 0
		.amdhsa_user_sgpr_flat_scratch_init 0
		.amdhsa_user_sgpr_private_segment_size 0
		.amdhsa_wavefront_size32 1
		.amdhsa_uses_dynamic_stack 0
		.amdhsa_system_sgpr_private_segment_wavefront_offset 0
		.amdhsa_system_sgpr_workgroup_id_x 1
		.amdhsa_system_sgpr_workgroup_id_y 0
		.amdhsa_system_sgpr_workgroup_id_z 0
		.amdhsa_system_sgpr_workgroup_info 0
		.amdhsa_system_vgpr_workitem_id 0
		.amdhsa_next_free_vgpr 140
		.amdhsa_next_free_sgpr 57
		.amdhsa_reserve_vcc 1
		.amdhsa_reserve_flat_scratch 0
		.amdhsa_float_round_mode_32 0
		.amdhsa_float_round_mode_16_64 0
		.amdhsa_float_denorm_mode_32 3
		.amdhsa_float_denorm_mode_16_64 3
		.amdhsa_dx10_clamp 1
		.amdhsa_ieee_mode 1
		.amdhsa_fp16_overflow 0
		.amdhsa_workgroup_processor_mode 1
		.amdhsa_memory_ordered 1
		.amdhsa_forward_progress 0
		.amdhsa_shared_vgpr_count 0
		.amdhsa_exception_fp_ieee_invalid_op 0
		.amdhsa_exception_fp_denorm_src 0
		.amdhsa_exception_fp_ieee_div_zero 0
		.amdhsa_exception_fp_ieee_overflow 0
		.amdhsa_exception_fp_ieee_underflow 0
		.amdhsa_exception_fp_ieee_inexact 0
		.amdhsa_exception_int_div_zero 0
	.end_amdhsa_kernel
	.text
.Lfunc_end0:
	.size	fft_rtc_fwd_len169_factors_13_13_wgs_156_tpt_13_half_op_CI_CI_sbcc_twdbase8_2step_dirReg_intrinsicRead, .Lfunc_end0-fft_rtc_fwd_len169_factors_13_13_wgs_156_tpt_13_half_op_CI_CI_sbcc_twdbase8_2step_dirReg_intrinsicRead
                                        ; -- End function
	.section	.AMDGPU.csdata,"",@progbits
; Kernel info:
; codeLenInByte = 11024
; NumSgprs: 59
; NumVgprs: 140
; ScratchSize: 0
; MemoryBound: 0
; FloatMode: 240
; IeeeMode: 1
; LDSByteSize: 0 bytes/workgroup (compile time only)
; SGPRBlocks: 7
; VGPRBlocks: 17
; NumSGPRsForWavesPerEU: 59
; NumVGPRsForWavesPerEU: 140
; Occupancy: 7
; WaveLimiterHint : 1
; COMPUTE_PGM_RSRC2:SCRATCH_EN: 0
; COMPUTE_PGM_RSRC2:USER_SGPR: 6
; COMPUTE_PGM_RSRC2:TRAP_HANDLER: 0
; COMPUTE_PGM_RSRC2:TGID_X_EN: 1
; COMPUTE_PGM_RSRC2:TGID_Y_EN: 0
; COMPUTE_PGM_RSRC2:TGID_Z_EN: 0
; COMPUTE_PGM_RSRC2:TIDIG_COMP_CNT: 0
	.text
	.p2alignl 6, 3214868480
	.fill 48, 4, 3214868480
	.type	__hip_cuid_cc12ce8d9a4a2ff5,@object ; @__hip_cuid_cc12ce8d9a4a2ff5
	.section	.bss,"aw",@nobits
	.globl	__hip_cuid_cc12ce8d9a4a2ff5
__hip_cuid_cc12ce8d9a4a2ff5:
	.byte	0                               ; 0x0
	.size	__hip_cuid_cc12ce8d9a4a2ff5, 1

	.ident	"AMD clang version 19.0.0git (https://github.com/RadeonOpenCompute/llvm-project roc-6.4.0 25133 c7fe45cf4b819c5991fe208aaa96edf142730f1d)"
	.section	".note.GNU-stack","",@progbits
	.addrsig
	.addrsig_sym __hip_cuid_cc12ce8d9a4a2ff5
	.amdgpu_metadata
---
amdhsa.kernels:
  - .args:
      - .actual_access:  read_only
        .address_space:  global
        .offset:         0
        .size:           8
        .value_kind:     global_buffer
      - .address_space:  global
        .offset:         8
        .size:           8
        .value_kind:     global_buffer
      - .offset:         16
        .size:           8
        .value_kind:     by_value
      - .actual_access:  read_only
        .address_space:  global
        .offset:         24
        .size:           8
        .value_kind:     global_buffer
      - .actual_access:  read_only
        .address_space:  global
        .offset:         32
        .size:           8
        .value_kind:     global_buffer
      - .actual_access:  read_only
        .address_space:  global
        .offset:         40
        .size:           8
        .value_kind:     global_buffer
      - .offset:         48
        .size:           8
        .value_kind:     by_value
      - .actual_access:  read_only
        .address_space:  global
        .offset:         56
        .size:           8
        .value_kind:     global_buffer
      - .actual_access:  read_only
        .address_space:  global
        .offset:         64
        .size:           8
        .value_kind:     global_buffer
      - .offset:         72
        .size:           4
        .value_kind:     by_value
      - .actual_access:  read_only
        .address_space:  global
        .offset:         80
        .size:           8
        .value_kind:     global_buffer
      - .actual_access:  read_only
        .address_space:  global
        .offset:         88
        .size:           8
        .value_kind:     global_buffer
      - .address_space:  global
        .offset:         96
        .size:           8
        .value_kind:     global_buffer
      - .actual_access:  write_only
        .address_space:  global
        .offset:         104
        .size:           8
        .value_kind:     global_buffer
    .group_segment_fixed_size: 0
    .kernarg_segment_align: 8
    .kernarg_segment_size: 112
    .language:       OpenCL C
    .language_version:
      - 2
      - 0
    .max_flat_workgroup_size: 156
    .name:           fft_rtc_fwd_len169_factors_13_13_wgs_156_tpt_13_half_op_CI_CI_sbcc_twdbase8_2step_dirReg_intrinsicRead
    .private_segment_fixed_size: 0
    .sgpr_count:     59
    .sgpr_spill_count: 0
    .symbol:         fft_rtc_fwd_len169_factors_13_13_wgs_156_tpt_13_half_op_CI_CI_sbcc_twdbase8_2step_dirReg_intrinsicRead.kd
    .uniform_work_group_size: 1
    .uses_dynamic_stack: false
    .vgpr_count:     140
    .vgpr_spill_count: 0
    .wavefront_size: 32
    .workgroup_processor_mode: 1
amdhsa.target:   amdgcn-amd-amdhsa--gfx1030
amdhsa.version:
  - 1
  - 2
...

	.end_amdgpu_metadata
